;; amdgpu-corpus repo=ROCm/rocSPARSE kind=compiled arch=gfx1030 opt=O3
	.amdgcn_target "amdgcn-amd-amdhsa--gfx1030"
	.amdhsa_code_object_version 6
	.section	.text._ZN9rocsparseL14nnz_kernel_rowILi64ELi16EiiDF16_EEv16rocsparse_order_T2_S2_PKT3_lPT1_,"axG",@progbits,_ZN9rocsparseL14nnz_kernel_rowILi64ELi16EiiDF16_EEv16rocsparse_order_T2_S2_PKT3_lPT1_,comdat
	.globl	_ZN9rocsparseL14nnz_kernel_rowILi64ELi16EiiDF16_EEv16rocsparse_order_T2_S2_PKT3_lPT1_ ; -- Begin function _ZN9rocsparseL14nnz_kernel_rowILi64ELi16EiiDF16_EEv16rocsparse_order_T2_S2_PKT3_lPT1_
	.p2align	8
	.type	_ZN9rocsparseL14nnz_kernel_rowILi64ELi16EiiDF16_EEv16rocsparse_order_T2_S2_PKT3_lPT1_,@function
_ZN9rocsparseL14nnz_kernel_rowILi64ELi16EiiDF16_EEv16rocsparse_order_T2_S2_PKT3_lPT1_: ; @_ZN9rocsparseL14nnz_kernel_rowILi64ELi16EiiDF16_EEv16rocsparse_order_T2_S2_PKT3_lPT1_
; %bb.0:
	s_clause 0x2
	s_load_dword s0, s[4:5], 0x34
	s_load_dwordx8 s[8:15], s[4:5], 0x0
	s_load_dwordx2 s[16:17], s[4:5], 0x20
	v_mov_b32_e32 v4, 0
	s_lshl_b32 s5, s6, 8
	s_mov_b32 s19, 0
	s_mov_b32 s18, exec_lo
	v_mov_b32_e32 v5, v4
	v_mov_b32_e32 v6, v4
	v_mov_b32_e32 v7, v4
	s_waitcnt lgkmcnt(0)
	s_and_b32 s0, s0, 0xffff
	v_mad_u32_u24 v15, v1, s0, v0
	s_ashr_i32 s0, s10, 31
	s_lshr_b32 s0, s0, 26
	s_add_i32 s11, s10, s0
	v_and_b32_e32 v16, 63, v15
	v_lshrrev_b32_e32 v0, 4, v15
	s_andn2_b32 s11, s11, 63
	v_or_b32_e32 v11, s5, v16
	v_and_b32_e32 v9, 0x7ffffc, v0
	v_mov_b32_e32 v0, v4
	v_mov_b32_e32 v1, v5
	;; [unrolled: 1-line block ×3, first 2 shown]
	v_or_b32_e32 v19, 64, v11
	v_or_b32_e32 v18, 0x80, v11
	;; [unrolled: 1-line block ×3, first 2 shown]
	v_mov_b32_e32 v3, v7
	v_cmpx_gt_i32_e64 s11, v9
	s_cbranch_execz .LBB0_28
; %bb.1:
	v_lshrrev_b32_e32 v26, 6, v15
	v_add_nc_u32_e32 v0, s5, v16
	v_cmp_gt_i32_e64 s0, s9, v11
	v_cmp_gt_i32_e64 s1, s9, v19
	;; [unrolled: 1-line block ×3, first 2 shown]
	v_lshlrev_b32_e32 v27, 2, v26
	v_ashrrev_i32_e32 v1, 31, v0
	v_mad_u64_u32 v[2:3], null, s14, v0, 0
	v_mul_lo_u32 v14, s15, v0
	v_or_b32_e32 v10, 3, v27
	v_mul_lo_u32 v22, s14, v1
	v_add_nc_u32_e32 v20, 64, v0
	v_lshlrev_b64 v[30:31], 1, v[0:1]
	v_or_b32_e32 v23, 2, v27
	v_mad_u64_u32 v[5:6], null, s14, v10, 0
	v_ashrrev_i32_e32 v24, 31, v20
	v_mul_lo_u32 v32, s15, v20
	v_mad_u64_u32 v[7:8], null, s14, v23, 0
	v_add3_u32 v3, v3, v22, v14
	v_mad_u64_u32 v[20:21], null, s14, v20, 0
	v_mov_b32_e32 v1, v6
	v_add_nc_u32_e32 v29, 0x80, v0
	v_lshlrev_b32_e32 v28, 3, v26
	v_cmp_gt_i32_e64 s3, s9, v17
	s_cmp_lg_u32 s8, 1
	v_mad_u64_u32 v[12:13], null, s15, v10, v[1:2]
	v_mul_lo_u32 v10, s14, v24
	v_lshlrev_b64 v[2:3], 1, v[2:3]
	v_mov_b32_e32 v1, v8
	v_mad_u64_u32 v[24:25], null, s14, v27, s[14:15]
	v_ashrrev_i32_e32 v33, 31, v29
	v_mov_b32_e32 v6, v12
	v_mad_u64_u32 v[22:23], null, s15, v23, v[1:2]
	v_add3_u32 v21, v21, v10, v32
	v_add_co_u32 v10, vcc_lo, v2, v28
	v_lshlrev_b64 v[5:6], 1, v[5:6]
	v_add_co_ci_u32_e64 v12, null, 0, v3, vcc_lo
	v_lshlrev_b64 v[1:2], 1, v[20:21]
	v_mov_b32_e32 v3, v25
	v_mov_b32_e32 v8, v22
	v_add_co_u32 v13, vcc_lo, v5, v30
	v_add_co_ci_u32_e64 v14, null, v6, v31, vcc_lo
	v_mul_lo_u32 v32, s14, v33
	v_mul_lo_u32 v25, s15, v29
	v_mad_u64_u32 v[5:6], null, s14, v29, 0
	v_mad_u64_u32 v[22:23], null, s15, v27, v[3:4]
	v_add_co_u32 v20, vcc_lo, v1, v28
	v_add_co_ci_u32_e64 v21, null, 0, v2, vcc_lo
	v_lshlrev_b64 v[2:3], 1, v[7:8]
	v_add_nc_u32_e32 v23, 0xc0, v0
	v_add3_u32 v6, v6, v32, v25
	v_mad_u64_u32 v[0:1], null, s14, v26, 0
	v_mov_b32_e32 v25, v22
	v_add_co_u32 v22, vcc_lo, v2, v30
	v_ashrrev_i32_e32 v27, 31, v23
	v_mul_lo_u32 v32, s15, v23
	v_mad_u64_u32 v[7:8], null, s14, v23, 0
	v_add_co_ci_u32_e64 v23, null, v3, v31, vcc_lo
	v_lshlrev_b64 v[2:3], 1, v[5:6]
	v_mul_lo_u32 v29, s14, v27
	s_cselect_b32 s20, -1, 0
	s_lshl_b64 s[6:7], s[14:15], 7
	v_mad_u64_u32 v[5:6], null, s15, v26, v[1:2]
	v_lshlrev_b64 v[26:27], 1, v[24:25]
	v_add3_u32 v8, v8, v29, v32
	v_add_co_u32 v24, vcc_lo, v2, v28
	v_add_co_ci_u32_e64 v25, null, 0, v3, vcc_lo
	v_mov_b32_e32 v1, v5
	v_lshlrev_b64 v[2:3], 1, v[7:8]
	v_add_co_u32 v26, vcc_lo, v26, v30
	v_add_co_ci_u32_e64 v27, null, v27, v31, vcc_lo
	v_lshlrev_b64 v[0:1], 3, v[0:1]
	v_add_co_u32 v28, vcc_lo, v2, v28
	v_mov_b32_e32 v5, v4
	v_mov_b32_e32 v6, v4
	;; [unrolled: 1-line block ×3, first 2 shown]
	v_add_co_ci_u32_e64 v29, null, 0, v3, vcc_lo
	v_add_co_u32 v30, vcc_lo, v0, v30
	v_add_co_ci_u32_e64 v31, null, v1, v31, vcc_lo
	v_mov_b32_e32 v0, v4
	v_mov_b32_e32 v1, v5
	;; [unrolled: 1-line block ×4, first 2 shown]
	s_branch .LBB0_4
.LBB0_2:                                ;   in Loop: Header=BB0_4 Depth=1
	v_mov_b32_e32 v0, v5
	v_mov_b32_e32 v1, v6
	;; [unrolled: 1-line block ×4, first 2 shown]
.LBB0_3:                                ;   in Loop: Header=BB0_4 Depth=1
	s_or_b32 exec_lo, exec_lo, s4
	v_add_co_u32 v10, vcc_lo, 0x80, v10
	v_add_co_ci_u32_e64 v12, null, 0, v12, vcc_lo
	v_add_co_u32 v13, vcc_lo, v13, s6
	v_add_co_ci_u32_e64 v14, null, s7, v14, vcc_lo
	;; [unrolled: 2-line block ×4, first 2 shown]
	v_add_co_u32 v24, vcc_lo, 0x80, v24
	v_add_nc_u32_e32 v9, 64, v9
	v_add_co_ci_u32_e64 v25, null, 0, v25, vcc_lo
	v_add_co_u32 v26, vcc_lo, v26, s6
	v_add_co_ci_u32_e64 v27, null, s7, v27, vcc_lo
	v_add_co_u32 v28, vcc_lo, 0x80, v28
	v_add_co_ci_u32_e64 v29, null, 0, v29, vcc_lo
	v_cmp_le_i32_e32 vcc_lo, s11, v9
	v_add_co_u32 v30, s4, v30, s6
	v_add_co_ci_u32_e64 v31, null, s7, v31, s4
	s_or_b32 s19, vcc_lo, s19
	s_andn2_b32 exec_lo, exec_lo, s19
	s_cbranch_execz .LBB0_27
.LBB0_4:                                ; =>This Inner Loop Header: Depth=1
	s_and_saveexec_b32 s4, s0
	s_cbranch_execnz .LBB0_8
; %bb.5:                                ;   in Loop: Header=BB0_4 Depth=1
	s_or_b32 exec_lo, exec_lo, s4
	s_and_saveexec_b32 s4, s1
	s_cbranch_execnz .LBB0_13
.LBB0_6:                                ;   in Loop: Header=BB0_4 Depth=1
	s_or_b32 exec_lo, exec_lo, s4
	s_and_saveexec_b32 s4, s2
	s_cbranch_execnz .LBB0_18
.LBB0_7:                                ;   in Loop: Header=BB0_4 Depth=1
	s_or_b32 exec_lo, exec_lo, s4
	s_and_saveexec_b32 s4, s3
	s_cbranch_execz .LBB0_3
	s_branch .LBB0_23
.LBB0_8:                                ;   in Loop: Header=BB0_4 Depth=1
	v_add_nc_u32_e32 v32, 1, v0
	s_andn2_b32 vcc_lo, exec_lo, s20
	s_mov_b32 s21, -1
                                        ; implicit-def: $vgpr5_vgpr6_vgpr7_vgpr8
	s_cbranch_vccnz .LBB0_10
; %bb.9:                                ;   in Loop: Header=BB0_4 Depth=1
	v_add_co_u32 v5, vcc_lo, s12, v10
	v_add_co_ci_u32_e64 v6, null, s13, v12, vcc_lo
	s_mov_b32 s21, 0
	global_load_dwordx2 v[7:8], v[5:6], off
	s_waitcnt vmcnt(0)
	v_cmp_neq_f16_e32 vcc_lo, 0, v7
	v_cndmask_b32_e32 v5, v0, v32, vcc_lo
	v_cmp_neq_f16_sdwa vcc_lo, v7, v4 src0_sel:WORD_1 src1_sel:DWORD
	v_mov_b32_e32 v7, v2
	v_add_nc_u32_e32 v6, 1, v5
	v_cndmask_b32_e32 v5, v5, v6, vcc_lo
	v_cmp_neq_f16_e32 vcc_lo, 0, v8
	v_add_nc_u32_e32 v6, 1, v5
	v_cndmask_b32_e32 v5, v5, v6, vcc_lo
	v_cmp_neq_f16_sdwa vcc_lo, v8, v4 src0_sel:WORD_1 src1_sel:DWORD
	v_mov_b32_e32 v6, v1
	v_mov_b32_e32 v8, v3
	v_add_nc_u32_e32 v33, 1, v5
	v_cndmask_b32_e32 v5, v5, v33, vcc_lo
.LBB0_10:                               ;   in Loop: Header=BB0_4 Depth=1
	s_andn2_b32 vcc_lo, exec_lo, s21
	s_cbranch_vccnz .LBB0_12
; %bb.11:                               ;   in Loop: Header=BB0_4 Depth=1
	v_add_co_u32 v5, vcc_lo, s12, v30
	v_add_co_ci_u32_e64 v6, null, s13, v31, vcc_lo
	global_load_ushort v7, v[5:6], off
	v_add_co_u32 v5, vcc_lo, s12, v26
	v_add_co_ci_u32_e64 v6, null, s13, v27, vcc_lo
	global_load_ushort v8, v[5:6], off
	;; [unrolled: 3-line block ×4, first 2 shown]
	s_waitcnt vmcnt(3)
	v_cmp_neq_f16_e32 vcc_lo, 0, v7
	v_cndmask_b32_e32 v0, v0, v32, vcc_lo
	s_waitcnt vmcnt(2)
	v_cmp_neq_f16_e32 vcc_lo, 0, v8
	v_add_nc_u32_e32 v6, 1, v0
	v_cndmask_b32_e32 v0, v0, v6, vcc_lo
	s_waitcnt vmcnt(1)
	v_cmp_neq_f16_e32 vcc_lo, 0, v33
	v_add_nc_u32_e32 v6, 1, v0
	;; [unrolled: 4-line block ×3, first 2 shown]
	v_cndmask_b32_e32 v0, v0, v6, vcc_lo
	v_mov_b32_e32 v8, v3
	v_mov_b32_e32 v7, v2
	v_mov_b32_e32 v6, v1
	v_mov_b32_e32 v5, v0
.LBB0_12:                               ;   in Loop: Header=BB0_4 Depth=1
	v_mov_b32_e32 v0, v5
	v_mov_b32_e32 v1, v6
	;; [unrolled: 1-line block ×4, first 2 shown]
	s_or_b32 exec_lo, exec_lo, s4
	s_and_saveexec_b32 s4, s1
	s_cbranch_execz .LBB0_6
.LBB0_13:                               ;   in Loop: Header=BB0_4 Depth=1
	v_add_nc_u32_e32 v32, 1, v1
	s_andn2_b32 vcc_lo, exec_lo, s20
	s_mov_b32 s21, -1
                                        ; implicit-def: $vgpr5_vgpr6_vgpr7_vgpr8
	s_cbranch_vccnz .LBB0_15
; %bb.14:                               ;   in Loop: Header=BB0_4 Depth=1
	v_add_co_u32 v5, vcc_lo, s12, v20
	v_add_co_ci_u32_e64 v6, null, s13, v21, vcc_lo
	s_mov_b32 s21, 0
	global_load_dwordx2 v[5:6], v[5:6], off
	s_waitcnt vmcnt(0)
	v_cmp_neq_f16_e32 vcc_lo, 0, v5
	v_cndmask_b32_e32 v7, v1, v32, vcc_lo
	v_cmp_neq_f16_sdwa vcc_lo, v5, v4 src0_sel:WORD_1 src1_sel:DWORD
	v_add_nc_u32_e32 v8, 1, v7
	v_cndmask_b32_e32 v5, v7, v8, vcc_lo
	v_cmp_neq_f16_e32 vcc_lo, 0, v6
	v_add_nc_u32_e32 v7, 1, v5
	v_cndmask_b32_e32 v8, v5, v7, vcc_lo
	v_cmp_neq_f16_sdwa vcc_lo, v6, v4 src0_sel:WORD_1 src1_sel:DWORD
	v_mov_b32_e32 v5, v0
	v_mov_b32_e32 v7, v2
	v_add_nc_u32_e32 v33, 1, v8
	v_cndmask_b32_e32 v6, v8, v33, vcc_lo
	v_mov_b32_e32 v8, v3
.LBB0_15:                               ;   in Loop: Header=BB0_4 Depth=1
	s_andn2_b32 vcc_lo, exec_lo, s21
	s_cbranch_vccnz .LBB0_17
; %bb.16:                               ;   in Loop: Header=BB0_4 Depth=1
	v_add_co_u32 v5, vcc_lo, s12, v30
	v_add_co_ci_u32_e64 v6, null, s13, v31, vcc_lo
	global_load_ushort v7, v[5:6], off offset:128
	v_add_co_u32 v5, vcc_lo, s12, v26
	v_add_co_ci_u32_e64 v6, null, s13, v27, vcc_lo
	global_load_ushort v8, v[5:6], off offset:128
	;; [unrolled: 3-line block ×4, first 2 shown]
	s_waitcnt vmcnt(3)
	v_cmp_neq_f16_e32 vcc_lo, 0, v7
	v_cndmask_b32_e32 v1, v1, v32, vcc_lo
	s_waitcnt vmcnt(2)
	v_cmp_neq_f16_e32 vcc_lo, 0, v8
	v_add_nc_u32_e32 v6, 1, v1
	v_cndmask_b32_e32 v1, v1, v6, vcc_lo
	s_waitcnt vmcnt(1)
	v_cmp_neq_f16_e32 vcc_lo, 0, v33
	v_add_nc_u32_e32 v6, 1, v1
	;; [unrolled: 4-line block ×3, first 2 shown]
	v_cndmask_b32_e32 v1, v1, v6, vcc_lo
	v_mov_b32_e32 v8, v3
	v_mov_b32_e32 v7, v2
	v_mov_b32_e32 v5, v0
	v_mov_b32_e32 v6, v1
.LBB0_17:                               ;   in Loop: Header=BB0_4 Depth=1
	v_mov_b32_e32 v0, v5
	v_mov_b32_e32 v1, v6
	;; [unrolled: 1-line block ×4, first 2 shown]
	s_or_b32 exec_lo, exec_lo, s4
	s_and_saveexec_b32 s4, s2
	s_cbranch_execz .LBB0_7
.LBB0_18:                               ;   in Loop: Header=BB0_4 Depth=1
	v_add_nc_u32_e32 v32, 1, v2
	s_andn2_b32 vcc_lo, exec_lo, s20
	s_mov_b32 s21, -1
                                        ; implicit-def: $vgpr5_vgpr6_vgpr7_vgpr8
	s_cbranch_vccnz .LBB0_20
; %bb.19:                               ;   in Loop: Header=BB0_4 Depth=1
	v_add_co_u32 v5, vcc_lo, s12, v24
	v_add_co_ci_u32_e64 v6, null, s13, v25, vcc_lo
	s_mov_b32 s21, 0
	global_load_dwordx2 v[6:7], v[5:6], off
	s_waitcnt vmcnt(0)
	v_cmp_neq_f16_e32 vcc_lo, 0, v6
	v_cndmask_b32_e32 v5, v2, v32, vcc_lo
	v_cmp_neq_f16_sdwa vcc_lo, v6, v4 src0_sel:WORD_1 src1_sel:DWORD
	v_add_nc_u32_e32 v8, 1, v5
	v_cndmask_b32_e32 v5, v5, v8, vcc_lo
	v_cmp_neq_f16_e32 vcc_lo, 0, v7
	v_add_nc_u32_e32 v6, 1, v5
	v_cndmask_b32_e32 v8, v5, v6, vcc_lo
	v_cmp_neq_f16_sdwa vcc_lo, v7, v4 src0_sel:WORD_1 src1_sel:DWORD
	v_mov_b32_e32 v5, v0
	v_mov_b32_e32 v6, v1
	v_add_nc_u32_e32 v33, 1, v8
	v_cndmask_b32_e32 v7, v8, v33, vcc_lo
	v_mov_b32_e32 v8, v3
.LBB0_20:                               ;   in Loop: Header=BB0_4 Depth=1
	s_andn2_b32 vcc_lo, exec_lo, s21
	s_cbranch_vccnz .LBB0_22
; %bb.21:                               ;   in Loop: Header=BB0_4 Depth=1
	v_add_co_u32 v5, vcc_lo, s12, v30
	v_add_co_ci_u32_e64 v6, null, s13, v31, vcc_lo
	global_load_ushort v7, v[5:6], off offset:256
	v_add_co_u32 v5, vcc_lo, s12, v26
	v_add_co_ci_u32_e64 v6, null, s13, v27, vcc_lo
	global_load_ushort v8, v[5:6], off offset:256
	;; [unrolled: 3-line block ×4, first 2 shown]
	s_waitcnt vmcnt(3)
	v_cmp_neq_f16_e32 vcc_lo, 0, v7
	v_cndmask_b32_e32 v2, v2, v32, vcc_lo
	s_waitcnt vmcnt(2)
	v_cmp_neq_f16_e32 vcc_lo, 0, v8
	v_add_nc_u32_e32 v6, 1, v2
	v_cndmask_b32_e32 v2, v2, v6, vcc_lo
	s_waitcnt vmcnt(1)
	v_cmp_neq_f16_e32 vcc_lo, 0, v33
	v_add_nc_u32_e32 v6, 1, v2
	;; [unrolled: 4-line block ×3, first 2 shown]
	v_cndmask_b32_e32 v2, v2, v6, vcc_lo
	v_mov_b32_e32 v8, v3
	v_mov_b32_e32 v6, v1
	;; [unrolled: 1-line block ×4, first 2 shown]
.LBB0_22:                               ;   in Loop: Header=BB0_4 Depth=1
	v_mov_b32_e32 v0, v5
	v_mov_b32_e32 v1, v6
	;; [unrolled: 1-line block ×4, first 2 shown]
	s_or_b32 exec_lo, exec_lo, s4
	s_and_saveexec_b32 s4, s3
	s_cbranch_execz .LBB0_3
.LBB0_23:                               ;   in Loop: Header=BB0_4 Depth=1
	v_add_nc_u32_e32 v32, 1, v3
	s_andn2_b32 vcc_lo, exec_lo, s20
	s_mov_b32 s21, -1
                                        ; implicit-def: $vgpr5_vgpr6_vgpr7_vgpr8
	s_cbranch_vccnz .LBB0_25
; %bb.24:                               ;   in Loop: Header=BB0_4 Depth=1
	v_add_co_u32 v5, vcc_lo, s12, v28
	v_add_co_ci_u32_e64 v6, null, s13, v29, vcc_lo
	s_mov_b32 s21, 0
	global_load_dwordx2 v[6:7], v[5:6], off
	s_waitcnt vmcnt(0)
	v_cmp_neq_f16_e32 vcc_lo, 0, v6
	v_cndmask_b32_e32 v5, v3, v32, vcc_lo
	v_cmp_neq_f16_sdwa vcc_lo, v6, v4 src0_sel:WORD_1 src1_sel:DWORD
	v_add_nc_u32_e32 v8, 1, v5
	v_cndmask_b32_e32 v5, v5, v8, vcc_lo
	v_cmp_neq_f16_e32 vcc_lo, 0, v7
	v_add_nc_u32_e32 v6, 1, v5
	v_cndmask_b32_e32 v8, v5, v6, vcc_lo
	v_cmp_neq_f16_sdwa vcc_lo, v7, v4 src0_sel:WORD_1 src1_sel:DWORD
	v_mov_b32_e32 v5, v0
	v_mov_b32_e32 v6, v1
	;; [unrolled: 1-line block ×3, first 2 shown]
	v_add_nc_u32_e32 v33, 1, v8
	v_cndmask_b32_e32 v8, v8, v33, vcc_lo
.LBB0_25:                               ;   in Loop: Header=BB0_4 Depth=1
	s_andn2_b32 vcc_lo, exec_lo, s21
	s_cbranch_vccnz .LBB0_2
; %bb.26:                               ;   in Loop: Header=BB0_4 Depth=1
	v_add_co_u32 v5, vcc_lo, s12, v30
	v_add_co_ci_u32_e64 v6, null, s13, v31, vcc_lo
	global_load_ushort v7, v[5:6], off offset:384
	v_add_co_u32 v5, vcc_lo, s12, v26
	v_add_co_ci_u32_e64 v6, null, s13, v27, vcc_lo
	global_load_ushort v8, v[5:6], off offset:384
	v_add_co_u32 v5, vcc_lo, s12, v22
	v_add_co_ci_u32_e64 v6, null, s13, v23, vcc_lo
	global_load_ushort v33, v[5:6], off offset:384
	v_add_co_u32 v5, vcc_lo, s12, v13
	v_add_co_ci_u32_e64 v6, null, s13, v14, vcc_lo
	global_load_ushort v5, v[5:6], off offset:384
	s_waitcnt vmcnt(3)
	v_cmp_neq_f16_e32 vcc_lo, 0, v7
	v_cndmask_b32_e32 v3, v3, v32, vcc_lo
	s_waitcnt vmcnt(2)
	v_cmp_neq_f16_e32 vcc_lo, 0, v8
	v_add_nc_u32_e32 v6, 1, v3
	v_cndmask_b32_e32 v3, v3, v6, vcc_lo
	s_waitcnt vmcnt(1)
	v_cmp_neq_f16_e32 vcc_lo, 0, v33
	v_add_nc_u32_e32 v6, 1, v3
	;; [unrolled: 4-line block ×3, first 2 shown]
	v_cndmask_b32_e32 v3, v3, v6, vcc_lo
	v_mov_b32_e32 v8, v3
	v_mov_b32_e32 v7, v2
	;; [unrolled: 1-line block ×4, first 2 shown]
	s_branch .LBB0_2
.LBB0_27:
	s_or_b32 exec_lo, exec_lo, s19
.LBB0_28:
	s_or_b32 exec_lo, exec_lo, s18
	s_sub_i32 s0, s10, s11
	s_cmp_lt_i32 s0, 1
	s_cbranch_scc1 .LBB0_134
; %bb.29:
	v_mov_b32_e32 v10, 0
	v_ashrrev_i32_e32 v12, 31, v11
	s_cmp_lg_u32 s8, 1
	s_cselect_b32 s1, -1, 0
	v_lshlrev_b64 v[4:5], 1, v[9:10]
	v_add_co_u32 v8, s0, s12, v4
	v_add_co_ci_u32_e64 v20, null, s13, v5, s0
	s_mov_b32 s0, exec_lo
	v_cmpx_gt_i32_e64 s9, v11
	s_cbranch_execnz .LBB0_33
; %bb.30:
	s_or_b32 exec_lo, exec_lo, s0
	s_mov_b32 s0, exec_lo
	v_cmpx_gt_i32_e64 s9, v19
	s_cbranch_execnz .LBB0_58
.LBB0_31:
	s_or_b32 exec_lo, exec_lo, s0
	s_mov_b32 s0, exec_lo
	v_cmpx_gt_i32_e64 s9, v18
	s_cbranch_execnz .LBB0_83
.LBB0_32:
	s_or_b32 exec_lo, exec_lo, s0
	s_mov_b32 s2, exec_lo
	v_cmpx_gt_i32_e64 s9, v17
	s_cbranch_execnz .LBB0_108
	s_branch .LBB0_133
.LBB0_33:
	v_mul_lo_u32 v6, s15, v11
	v_mul_lo_u32 v7, s14, v12
	v_mad_u64_u32 v[4:5], null, s14, v11, 0
	s_mov_b32 s2, exec_lo
	v_add3_u32 v5, v5, v7, v6
	v_lshlrev_b64 v[6:7], 1, v[11:12]
	v_lshlrev_b64 v[4:5], 1, v[4:5]
	v_add_co_u32 v10, vcc_lo, s12, v6
	v_add_co_ci_u32_e64 v21, null, s13, v7, vcc_lo
	v_add_co_u32 v13, vcc_lo, v8, v4
	v_add_co_ci_u32_e64 v14, null, v20, v5, vcc_lo
	v_cmpx_gt_i32_e64 s10, v9
	s_cbranch_execz .LBB0_39
; %bb.34:
	s_and_b32 vcc_lo, exec_lo, s1
	s_cbranch_vccz .LBB0_36
; %bb.35:
	global_load_ushort v4, v[13:14], off
	s_waitcnt vmcnt(0)
	v_cmp_neq_f16_e32 vcc_lo, 0, v4
	v_mov_b32_e32 v7, v3
	v_mov_b32_e32 v4, v0
	;; [unrolled: 1-line block ×4, first 2 shown]
	v_add_co_ci_u32_e64 v22, null, 0, v0, vcc_lo
	v_mov_b32_e32 v4, v22
	s_cbranch_execz .LBB0_37
	s_branch .LBB0_38
.LBB0_36:
                                        ; implicit-def: $vgpr4_vgpr5_vgpr6_vgpr7
.LBB0_37:
	v_mad_u64_u32 v[4:5], null, s14, v9, 0
	v_mad_u64_u32 v[5:6], null, s15, v9, v[5:6]
	v_lshlrev_b64 v[4:5], 1, v[4:5]
	v_add_co_u32 v4, vcc_lo, v10, v4
	v_add_co_ci_u32_e64 v5, null, v21, v5, vcc_lo
	global_load_ushort v4, v[4:5], off
	s_waitcnt vmcnt(0)
	v_cmp_neq_f16_e32 vcc_lo, 0, v4
	v_add_co_ci_u32_e64 v0, null, 0, v0, vcc_lo
	v_mov_b32_e32 v7, v3
	v_mov_b32_e32 v6, v2
	;; [unrolled: 1-line block ×4, first 2 shown]
.LBB0_38:
	v_mov_b32_e32 v0, v4
	v_mov_b32_e32 v1, v5
	;; [unrolled: 1-line block ×4, first 2 shown]
.LBB0_39:
	s_or_b32 exec_lo, exec_lo, s2
	v_or_b32_e32 v22, 1, v9
	s_mov_b32 s2, exec_lo
	v_cmpx_gt_i32_e64 s10, v22
	s_cbranch_execz .LBB0_45
; %bb.40:
	s_andn2_b32 vcc_lo, exec_lo, s1
	s_cbranch_vccnz .LBB0_42
; %bb.41:
	global_load_ushort v4, v[13:14], off offset:2
	s_waitcnt vmcnt(0)
	v_cmp_neq_f16_e32 vcc_lo, 0, v4
	v_mov_b32_e32 v7, v3
	v_mov_b32_e32 v4, v0
	v_mov_b32_e32 v6, v2
	v_mov_b32_e32 v5, v1
	v_add_co_ci_u32_e64 v23, null, 0, v0, vcc_lo
	v_mov_b32_e32 v4, v23
	s_cbranch_execz .LBB0_43
	s_branch .LBB0_44
.LBB0_42:
                                        ; implicit-def: $vgpr4_vgpr5_vgpr6_vgpr7
.LBB0_43:
	v_mad_u64_u32 v[4:5], null, s14, v22, 0
	v_mad_u64_u32 v[5:6], null, s15, v22, v[5:6]
	v_lshlrev_b64 v[4:5], 1, v[4:5]
	v_add_co_u32 v4, vcc_lo, v10, v4
	v_add_co_ci_u32_e64 v5, null, v21, v5, vcc_lo
	global_load_ushort v4, v[4:5], off
	s_waitcnt vmcnt(0)
	v_cmp_neq_f16_e32 vcc_lo, 0, v4
	v_add_co_ci_u32_e64 v0, null, 0, v0, vcc_lo
	v_mov_b32_e32 v7, v3
	v_mov_b32_e32 v6, v2
	v_mov_b32_e32 v5, v1
	v_mov_b32_e32 v4, v0
.LBB0_44:
	v_mov_b32_e32 v0, v4
	v_mov_b32_e32 v1, v5
	v_mov_b32_e32 v2, v6
	v_mov_b32_e32 v3, v7
.LBB0_45:
	s_or_b32 exec_lo, exec_lo, s2
	v_or_b32_e32 v22, 2, v9
	s_mov_b32 s2, exec_lo
	v_cmpx_gt_i32_e64 s10, v22
	s_cbranch_execz .LBB0_51
; %bb.46:
	s_andn2_b32 vcc_lo, exec_lo, s1
	s_cbranch_vccnz .LBB0_48
; %bb.47:
	global_load_ushort v4, v[13:14], off offset:4
	s_waitcnt vmcnt(0)
	v_cmp_neq_f16_e32 vcc_lo, 0, v4
	v_mov_b32_e32 v7, v3
	v_mov_b32_e32 v4, v0
	v_mov_b32_e32 v6, v2
	v_mov_b32_e32 v5, v1
	v_add_co_ci_u32_e64 v23, null, 0, v0, vcc_lo
	v_mov_b32_e32 v4, v23
	s_cbranch_execz .LBB0_49
	s_branch .LBB0_50
.LBB0_48:
                                        ; implicit-def: $vgpr4_vgpr5_vgpr6_vgpr7
.LBB0_49:
	v_mad_u64_u32 v[4:5], null, s14, v22, 0
	v_mad_u64_u32 v[5:6], null, s15, v22, v[5:6]
	v_lshlrev_b64 v[4:5], 1, v[4:5]
	v_add_co_u32 v4, vcc_lo, v10, v4
	v_add_co_ci_u32_e64 v5, null, v21, v5, vcc_lo
	global_load_ushort v4, v[4:5], off
	s_waitcnt vmcnt(0)
	v_cmp_neq_f16_e32 vcc_lo, 0, v4
	v_add_co_ci_u32_e64 v0, null, 0, v0, vcc_lo
	v_mov_b32_e32 v7, v3
	v_mov_b32_e32 v6, v2
	v_mov_b32_e32 v5, v1
	v_mov_b32_e32 v4, v0
.LBB0_50:
	v_mov_b32_e32 v0, v4
	v_mov_b32_e32 v1, v5
	v_mov_b32_e32 v2, v6
	v_mov_b32_e32 v3, v7
.LBB0_51:
	;; [unrolled: 42-line block ×3, first 2 shown]
	s_or_b32 exec_lo, exec_lo, s2
	s_or_b32 exec_lo, exec_lo, s0
	s_mov_b32 s0, exec_lo
	v_cmpx_gt_i32_e64 s9, v19
	s_cbranch_execz .LBB0_31
.LBB0_58:
	v_ashrrev_i32_e32 v6, 31, v19
	v_mul_lo_u32 v7, s15, v19
	v_mad_u64_u32 v[4:5], null, s14, v19, 0
	s_mov_b32 s2, exec_lo
	v_mul_lo_u32 v6, s14, v6
	v_add3_u32 v5, v5, v6, v7
	v_lshlrev_b64 v[6:7], 1, v[11:12]
	v_lshlrev_b64 v[4:5], 1, v[4:5]
	v_add_co_u32 v10, vcc_lo, s12, v6
	v_add_co_ci_u32_e64 v19, null, s13, v7, vcc_lo
	v_add_co_u32 v13, vcc_lo, v8, v4
	v_add_co_ci_u32_e64 v14, null, v20, v5, vcc_lo
	v_cmpx_gt_i32_e64 s10, v9
	s_cbranch_execz .LBB0_64
; %bb.59:
	s_andn2_b32 vcc_lo, exec_lo, s1
	s_cbranch_vccnz .LBB0_61
; %bb.60:
	global_load_ushort v4, v[13:14], off
	s_waitcnt vmcnt(0)
	v_cmp_neq_f16_e32 vcc_lo, 0, v4
	v_mov_b32_e32 v7, v3
	v_mov_b32_e32 v5, v1
	;; [unrolled: 1-line block ×4, first 2 shown]
	v_add_co_ci_u32_e64 v21, null, 0, v1, vcc_lo
	v_mov_b32_e32 v5, v21
	s_cbranch_execz .LBB0_62
	s_branch .LBB0_63
.LBB0_61:
                                        ; implicit-def: $vgpr4_vgpr5_vgpr6_vgpr7
.LBB0_62:
	v_mad_u64_u32 v[4:5], null, s14, v9, 0
	v_mad_u64_u32 v[5:6], null, s15, v9, v[5:6]
	v_lshlrev_b64 v[4:5], 1, v[4:5]
	v_add_co_u32 v4, vcc_lo, v10, v4
	v_add_co_ci_u32_e64 v5, null, v19, v5, vcc_lo
	global_load_ushort v4, v[4:5], off offset:128
	s_waitcnt vmcnt(0)
	v_cmp_neq_f16_e32 vcc_lo, 0, v4
	v_add_co_ci_u32_e64 v1, null, 0, v1, vcc_lo
	v_mov_b32_e32 v7, v3
	v_mov_b32_e32 v6, v2
	;; [unrolled: 1-line block ×4, first 2 shown]
.LBB0_63:
	v_mov_b32_e32 v0, v4
	v_mov_b32_e32 v1, v5
	v_mov_b32_e32 v2, v6
	v_mov_b32_e32 v3, v7
.LBB0_64:
	s_or_b32 exec_lo, exec_lo, s2
	v_or_b32_e32 v21, 1, v9
	s_mov_b32 s2, exec_lo
	v_cmpx_gt_i32_e64 s10, v21
	s_cbranch_execz .LBB0_70
; %bb.65:
	s_andn2_b32 vcc_lo, exec_lo, s1
	s_cbranch_vccnz .LBB0_67
; %bb.66:
	global_load_ushort v4, v[13:14], off offset:2
	s_waitcnt vmcnt(0)
	v_cmp_neq_f16_e32 vcc_lo, 0, v4
	v_mov_b32_e32 v7, v3
	v_mov_b32_e32 v5, v1
	v_mov_b32_e32 v6, v2
	v_mov_b32_e32 v4, v0
	v_add_co_ci_u32_e64 v22, null, 0, v1, vcc_lo
	v_mov_b32_e32 v5, v22
	s_cbranch_execz .LBB0_68
	s_branch .LBB0_69
.LBB0_67:
                                        ; implicit-def: $vgpr4_vgpr5_vgpr6_vgpr7
.LBB0_68:
	v_mad_u64_u32 v[4:5], null, s14, v21, 0
	v_mad_u64_u32 v[5:6], null, s15, v21, v[5:6]
	v_lshlrev_b64 v[4:5], 1, v[4:5]
	v_add_co_u32 v4, vcc_lo, v10, v4
	v_add_co_ci_u32_e64 v5, null, v19, v5, vcc_lo
	global_load_ushort v4, v[4:5], off offset:128
	s_waitcnt vmcnt(0)
	v_cmp_neq_f16_e32 vcc_lo, 0, v4
	v_add_co_ci_u32_e64 v1, null, 0, v1, vcc_lo
	v_mov_b32_e32 v7, v3
	v_mov_b32_e32 v6, v2
	v_mov_b32_e32 v4, v0
	v_mov_b32_e32 v5, v1
.LBB0_69:
	v_mov_b32_e32 v0, v4
	v_mov_b32_e32 v1, v5
	v_mov_b32_e32 v2, v6
	v_mov_b32_e32 v3, v7
.LBB0_70:
	s_or_b32 exec_lo, exec_lo, s2
	v_or_b32_e32 v21, 2, v9
	s_mov_b32 s2, exec_lo
	v_cmpx_gt_i32_e64 s10, v21
	s_cbranch_execz .LBB0_76
; %bb.71:
	s_andn2_b32 vcc_lo, exec_lo, s1
	s_cbranch_vccnz .LBB0_73
; %bb.72:
	global_load_ushort v4, v[13:14], off offset:4
	s_waitcnt vmcnt(0)
	v_cmp_neq_f16_e32 vcc_lo, 0, v4
	v_mov_b32_e32 v7, v3
	v_mov_b32_e32 v5, v1
	v_mov_b32_e32 v6, v2
	v_mov_b32_e32 v4, v0
	v_add_co_ci_u32_e64 v22, null, 0, v1, vcc_lo
	v_mov_b32_e32 v5, v22
	s_cbranch_execz .LBB0_74
	s_branch .LBB0_75
.LBB0_73:
                                        ; implicit-def: $vgpr4_vgpr5_vgpr6_vgpr7
.LBB0_74:
	v_mad_u64_u32 v[4:5], null, s14, v21, 0
	v_mad_u64_u32 v[5:6], null, s15, v21, v[5:6]
	v_lshlrev_b64 v[4:5], 1, v[4:5]
	v_add_co_u32 v4, vcc_lo, v10, v4
	v_add_co_ci_u32_e64 v5, null, v19, v5, vcc_lo
	global_load_ushort v4, v[4:5], off offset:128
	s_waitcnt vmcnt(0)
	v_cmp_neq_f16_e32 vcc_lo, 0, v4
	v_add_co_ci_u32_e64 v1, null, 0, v1, vcc_lo
	v_mov_b32_e32 v7, v3
	v_mov_b32_e32 v6, v2
	v_mov_b32_e32 v4, v0
	v_mov_b32_e32 v5, v1
.LBB0_75:
	v_mov_b32_e32 v0, v4
	v_mov_b32_e32 v1, v5
	v_mov_b32_e32 v2, v6
	v_mov_b32_e32 v3, v7
.LBB0_76:
	;; [unrolled: 42-line block ×3, first 2 shown]
	s_or_b32 exec_lo, exec_lo, s2
	s_or_b32 exec_lo, exec_lo, s0
	s_mov_b32 s0, exec_lo
	v_cmpx_gt_i32_e64 s9, v18
	s_cbranch_execz .LBB0_32
.LBB0_83:
	v_ashrrev_i32_e32 v6, 31, v18
	v_mul_lo_u32 v7, s15, v18
	v_mad_u64_u32 v[4:5], null, s14, v18, 0
	s_mov_b32 s2, exec_lo
	v_mul_lo_u32 v6, s14, v6
	v_add3_u32 v5, v5, v6, v7
	v_lshlrev_b64 v[6:7], 1, v[11:12]
	v_lshlrev_b64 v[4:5], 1, v[4:5]
	v_add_co_u32 v10, vcc_lo, s12, v6
	v_add_co_ci_u32_e64 v18, null, s13, v7, vcc_lo
	v_add_co_u32 v13, vcc_lo, v8, v4
	v_add_co_ci_u32_e64 v14, null, v20, v5, vcc_lo
	v_cmpx_gt_i32_e64 s10, v9
	s_cbranch_execz .LBB0_89
; %bb.84:
	s_andn2_b32 vcc_lo, exec_lo, s1
	s_cbranch_vccnz .LBB0_86
; %bb.85:
	global_load_ushort v4, v[13:14], off
	s_waitcnt vmcnt(0)
	v_cmp_neq_f16_e32 vcc_lo, 0, v4
	v_mov_b32_e32 v7, v3
	v_mov_b32_e32 v6, v2
	;; [unrolled: 1-line block ×4, first 2 shown]
	v_add_co_ci_u32_e64 v19, null, 0, v2, vcc_lo
	v_mov_b32_e32 v6, v19
	s_cbranch_execz .LBB0_87
	s_branch .LBB0_88
.LBB0_86:
                                        ; implicit-def: $vgpr4_vgpr5_vgpr6_vgpr7
.LBB0_87:
	v_mad_u64_u32 v[4:5], null, s14, v9, 0
	v_mad_u64_u32 v[5:6], null, s15, v9, v[5:6]
	v_lshlrev_b64 v[4:5], 1, v[4:5]
	v_add_co_u32 v4, vcc_lo, v10, v4
	v_add_co_ci_u32_e64 v5, null, v18, v5, vcc_lo
	global_load_ushort v4, v[4:5], off offset:256
	s_waitcnt vmcnt(0)
	v_cmp_neq_f16_e32 vcc_lo, 0, v4
	v_add_co_ci_u32_e64 v2, null, 0, v2, vcc_lo
	v_mov_b32_e32 v7, v3
	v_mov_b32_e32 v5, v1
	;; [unrolled: 1-line block ×4, first 2 shown]
.LBB0_88:
	v_mov_b32_e32 v0, v4
	v_mov_b32_e32 v1, v5
	v_mov_b32_e32 v2, v6
	v_mov_b32_e32 v3, v7
.LBB0_89:
	s_or_b32 exec_lo, exec_lo, s2
	v_or_b32_e32 v19, 1, v9
	s_mov_b32 s2, exec_lo
	v_cmpx_gt_i32_e64 s10, v19
	s_cbranch_execz .LBB0_95
; %bb.90:
	s_andn2_b32 vcc_lo, exec_lo, s1
	s_cbranch_vccnz .LBB0_92
; %bb.91:
	global_load_ushort v4, v[13:14], off offset:2
	s_waitcnt vmcnt(0)
	v_cmp_neq_f16_e32 vcc_lo, 0, v4
	v_mov_b32_e32 v7, v3
	v_mov_b32_e32 v6, v2
	v_mov_b32_e32 v5, v1
	v_mov_b32_e32 v4, v0
	v_add_co_ci_u32_e64 v21, null, 0, v2, vcc_lo
	v_mov_b32_e32 v6, v21
	s_cbranch_execz .LBB0_93
	s_branch .LBB0_94
.LBB0_92:
                                        ; implicit-def: $vgpr4_vgpr5_vgpr6_vgpr7
.LBB0_93:
	v_mad_u64_u32 v[4:5], null, s14, v19, 0
	v_mad_u64_u32 v[5:6], null, s15, v19, v[5:6]
	v_lshlrev_b64 v[4:5], 1, v[4:5]
	v_add_co_u32 v4, vcc_lo, v10, v4
	v_add_co_ci_u32_e64 v5, null, v18, v5, vcc_lo
	global_load_ushort v4, v[4:5], off offset:256
	s_waitcnt vmcnt(0)
	v_cmp_neq_f16_e32 vcc_lo, 0, v4
	v_add_co_ci_u32_e64 v2, null, 0, v2, vcc_lo
	v_mov_b32_e32 v7, v3
	v_mov_b32_e32 v5, v1
	v_mov_b32_e32 v4, v0
	v_mov_b32_e32 v6, v2
.LBB0_94:
	v_mov_b32_e32 v0, v4
	v_mov_b32_e32 v1, v5
	v_mov_b32_e32 v2, v6
	v_mov_b32_e32 v3, v7
.LBB0_95:
	s_or_b32 exec_lo, exec_lo, s2
	v_or_b32_e32 v19, 2, v9
	s_mov_b32 s2, exec_lo
	v_cmpx_gt_i32_e64 s10, v19
	s_cbranch_execz .LBB0_101
; %bb.96:
	s_andn2_b32 vcc_lo, exec_lo, s1
	s_cbranch_vccnz .LBB0_98
; %bb.97:
	global_load_ushort v4, v[13:14], off offset:4
	s_waitcnt vmcnt(0)
	v_cmp_neq_f16_e32 vcc_lo, 0, v4
	v_mov_b32_e32 v7, v3
	v_mov_b32_e32 v6, v2
	v_mov_b32_e32 v5, v1
	v_mov_b32_e32 v4, v0
	v_add_co_ci_u32_e64 v21, null, 0, v2, vcc_lo
	v_mov_b32_e32 v6, v21
	s_cbranch_execz .LBB0_99
	s_branch .LBB0_100
.LBB0_98:
                                        ; implicit-def: $vgpr4_vgpr5_vgpr6_vgpr7
.LBB0_99:
	v_mad_u64_u32 v[4:5], null, s14, v19, 0
	v_mad_u64_u32 v[5:6], null, s15, v19, v[5:6]
	v_lshlrev_b64 v[4:5], 1, v[4:5]
	v_add_co_u32 v4, vcc_lo, v10, v4
	v_add_co_ci_u32_e64 v5, null, v18, v5, vcc_lo
	global_load_ushort v4, v[4:5], off offset:256
	s_waitcnt vmcnt(0)
	v_cmp_neq_f16_e32 vcc_lo, 0, v4
	v_add_co_ci_u32_e64 v2, null, 0, v2, vcc_lo
	v_mov_b32_e32 v7, v3
	v_mov_b32_e32 v5, v1
	v_mov_b32_e32 v4, v0
	v_mov_b32_e32 v6, v2
.LBB0_100:
	v_mov_b32_e32 v0, v4
	v_mov_b32_e32 v1, v5
	v_mov_b32_e32 v2, v6
	v_mov_b32_e32 v3, v7
.LBB0_101:
	;; [unrolled: 42-line block ×3, first 2 shown]
	s_or_b32 exec_lo, exec_lo, s2
	s_or_b32 exec_lo, exec_lo, s0
	s_mov_b32 s2, exec_lo
	v_cmpx_gt_i32_e64 s9, v17
	s_cbranch_execz .LBB0_133
.LBB0_108:
	v_ashrrev_i32_e32 v6, 31, v17
	v_mul_lo_u32 v7, s15, v17
	v_mad_u64_u32 v[4:5], null, s14, v17, 0
	v_mul_lo_u32 v6, s14, v6
	v_add3_u32 v5, v5, v6, v7
	v_lshlrev_b64 v[6:7], 1, v[11:12]
	v_lshlrev_b64 v[4:5], 1, v[4:5]
	v_add_co_u32 v12, s0, s12, v6
	v_add_co_ci_u32_e64 v13, null, s13, v7, s0
	v_add_co_u32 v10, s0, v8, v4
	v_add_co_ci_u32_e64 v11, null, v20, v5, s0
	v_cndmask_b32_e64 v8, 0, 1, s1
	s_mov_b32 s0, exec_lo
	v_cmpx_gt_i32_e64 s10, v9
	s_cbranch_execz .LBB0_114
; %bb.109:
	s_andn2_b32 vcc_lo, exec_lo, s1
	s_cbranch_vccnz .LBB0_111
; %bb.110:
	global_load_ushort v4, v[10:11], off
	s_waitcnt vmcnt(0)
	v_cmp_neq_f16_e32 vcc_lo, 0, v4
	v_mov_b32_e32 v7, v3
	v_mov_b32_e32 v6, v2
	;; [unrolled: 1-line block ×4, first 2 shown]
	v_add_co_ci_u32_e64 v14, null, 0, v3, vcc_lo
	v_mov_b32_e32 v7, v14
	s_cbranch_execz .LBB0_112
	s_branch .LBB0_113
.LBB0_111:
                                        ; implicit-def: $vgpr4_vgpr5_vgpr6_vgpr7
.LBB0_112:
	v_mad_u64_u32 v[4:5], null, s14, v9, 0
	v_mad_u64_u32 v[5:6], null, s15, v9, v[5:6]
	v_lshlrev_b64 v[4:5], 1, v[4:5]
	v_add_co_u32 v4, vcc_lo, v12, v4
	v_add_co_ci_u32_e64 v5, null, v13, v5, vcc_lo
	global_load_ushort v4, v[4:5], off offset:384
	s_waitcnt vmcnt(0)
	v_cmp_neq_f16_e32 vcc_lo, 0, v4
	v_add_co_ci_u32_e64 v3, null, 0, v3, vcc_lo
	v_mov_b32_e32 v7, v3
	v_mov_b32_e32 v6, v2
	;; [unrolled: 1-line block ×4, first 2 shown]
.LBB0_113:
	v_mov_b32_e32 v0, v4
	v_mov_b32_e32 v1, v5
	;; [unrolled: 1-line block ×4, first 2 shown]
.LBB0_114:
	s_or_b32 exec_lo, exec_lo, s0
	v_or_b32_e32 v14, 1, v9
	s_mov_b32 s0, exec_lo
	v_cmpx_gt_i32_e64 s10, v14
	s_cbranch_execz .LBB0_120
; %bb.115:
	v_cmp_ne_u32_e32 vcc_lo, 1, v8
	s_cbranch_vccnz .LBB0_117
; %bb.116:
	global_load_ushort v4, v[10:11], off offset:2
	s_waitcnt vmcnt(0)
	v_cmp_neq_f16_e32 vcc_lo, 0, v4
	v_mov_b32_e32 v7, v3
	v_mov_b32_e32 v6, v2
	v_mov_b32_e32 v5, v1
	v_mov_b32_e32 v4, v0
	v_add_co_ci_u32_e64 v17, null, 0, v3, vcc_lo
	v_mov_b32_e32 v7, v17
	s_cbranch_execz .LBB0_118
	s_branch .LBB0_119
.LBB0_117:
                                        ; implicit-def: $vgpr4_vgpr5_vgpr6_vgpr7
.LBB0_118:
	v_mad_u64_u32 v[4:5], null, s14, v14, 0
	v_mad_u64_u32 v[5:6], null, s15, v14, v[5:6]
	v_lshlrev_b64 v[4:5], 1, v[4:5]
	v_add_co_u32 v4, vcc_lo, v12, v4
	v_add_co_ci_u32_e64 v5, null, v13, v5, vcc_lo
	global_load_ushort v4, v[4:5], off offset:384
	s_waitcnt vmcnt(0)
	v_cmp_neq_f16_e32 vcc_lo, 0, v4
	v_add_co_ci_u32_e64 v3, null, 0, v3, vcc_lo
	v_mov_b32_e32 v7, v3
	v_mov_b32_e32 v6, v2
	v_mov_b32_e32 v5, v1
	v_mov_b32_e32 v4, v0
.LBB0_119:
	v_mov_b32_e32 v0, v4
	v_mov_b32_e32 v1, v5
	v_mov_b32_e32 v2, v6
	v_mov_b32_e32 v3, v7
.LBB0_120:
	s_or_b32 exec_lo, exec_lo, s0
	v_or_b32_e32 v14, 2, v9
	s_mov_b32 s0, exec_lo
	v_cmpx_gt_i32_e64 s10, v14
	s_cbranch_execz .LBB0_126
; %bb.121:
	v_cmp_ne_u32_e32 vcc_lo, 1, v8
	s_cbranch_vccnz .LBB0_123
; %bb.122:
	global_load_ushort v4, v[10:11], off offset:4
	s_waitcnt vmcnt(0)
	v_cmp_neq_f16_e32 vcc_lo, 0, v4
	v_mov_b32_e32 v7, v3
	v_mov_b32_e32 v6, v2
	v_mov_b32_e32 v5, v1
	v_mov_b32_e32 v4, v0
	v_add_co_ci_u32_e64 v17, null, 0, v3, vcc_lo
	v_mov_b32_e32 v7, v17
	s_cbranch_execz .LBB0_124
	s_branch .LBB0_125
.LBB0_123:
                                        ; implicit-def: $vgpr4_vgpr5_vgpr6_vgpr7
.LBB0_124:
	v_mad_u64_u32 v[4:5], null, s14, v14, 0
	v_mad_u64_u32 v[5:6], null, s15, v14, v[5:6]
	v_lshlrev_b64 v[4:5], 1, v[4:5]
	v_add_co_u32 v4, vcc_lo, v12, v4
	v_add_co_ci_u32_e64 v5, null, v13, v5, vcc_lo
	global_load_ushort v4, v[4:5], off offset:384
	s_waitcnt vmcnt(0)
	v_cmp_neq_f16_e32 vcc_lo, 0, v4
	v_add_co_ci_u32_e64 v3, null, 0, v3, vcc_lo
	v_mov_b32_e32 v7, v3
	v_mov_b32_e32 v6, v2
	v_mov_b32_e32 v5, v1
	v_mov_b32_e32 v4, v0
.LBB0_125:
	v_mov_b32_e32 v0, v4
	v_mov_b32_e32 v1, v5
	v_mov_b32_e32 v2, v6
	v_mov_b32_e32 v3, v7
.LBB0_126:
	;; [unrolled: 42-line block ×3, first 2 shown]
	s_or_b32 exec_lo, exec_lo, s0
.LBB0_133:
	s_or_b32 exec_lo, exec_lo, s2
.LBB0_134:
	v_lshlrev_b32_e32 v4, 4, v15
	v_lshlrev_b32_e32 v5, 2, v16
	s_mov_b32 s0, exec_lo
	v_and_or_b32 v4, 0x7ffffc00, v4, v5
	ds_write2st64_b32 v4, v0, v1 offset1:1
	ds_write2st64_b32 v4, v2, v3 offset0:2 offset1:3
	s_waitcnt lgkmcnt(0)
	s_barrier
	buffer_gl0_inv
	v_cmpx_gt_u32_e32 0x100, v15
	s_cbranch_execz .LBB0_137
; %bb.135:
	v_lshlrev_b32_e32 v8, 2, v15
	ds_read2st64_b32 v[0:1], v8 offset1:4
	ds_read2st64_b32 v[2:3], v8 offset0:8 offset1:12
	ds_read2st64_b32 v[4:5], v8 offset0:16 offset1:20
	ds_read2st64_b32 v[6:7], v8 offset0:24 offset1:28
	s_waitcnt lgkmcnt(3)
	v_add_nc_u32_e32 v9, v0, v1
	ds_read2st64_b32 v[0:1], v8 offset0:32 offset1:36
	s_waitcnt lgkmcnt(3)
	v_add3_u32 v9, v9, v2, v3
	ds_read2st64_b32 v[2:3], v8 offset0:40 offset1:44
	s_waitcnt lgkmcnt(3)
	v_add3_u32 v9, v9, v4, v5
	;; [unrolled: 3-line block ×4, first 2 shown]
	s_waitcnt lgkmcnt(2)
	v_add3_u32 v0, v0, v2, v3
	s_waitcnt lgkmcnt(1)
	v_add3_u32 v1, v0, v4, v5
	v_add_nc_u32_e32 v0, s5, v15
	s_waitcnt lgkmcnt(0)
	v_add3_u32 v2, v1, v6, v7
	v_cmp_gt_i32_e32 vcc_lo, s9, v0
	ds_write_b32 v8, v2
	s_and_b32 exec_lo, exec_lo, vcc_lo
	s_cbranch_execz .LBB0_137
; %bb.136:
	v_ashrrev_i32_e32 v1, 31, v0
	v_lshlrev_b64 v[0:1], 2, v[0:1]
	v_add_co_u32 v0, vcc_lo, s16, v0
	v_add_co_ci_u32_e64 v1, null, s17, v1, vcc_lo
	global_store_dword v[0:1], v2, off
.LBB0_137:
	s_endpgm
	.section	.rodata,"a",@progbits
	.p2align	6, 0x0
	.amdhsa_kernel _ZN9rocsparseL14nnz_kernel_rowILi64ELi16EiiDF16_EEv16rocsparse_order_T2_S2_PKT3_lPT1_
		.amdhsa_group_segment_fixed_size 16384
		.amdhsa_private_segment_fixed_size 0
		.amdhsa_kernarg_size 296
		.amdhsa_user_sgpr_count 6
		.amdhsa_user_sgpr_private_segment_buffer 1
		.amdhsa_user_sgpr_dispatch_ptr 0
		.amdhsa_user_sgpr_queue_ptr 0
		.amdhsa_user_sgpr_kernarg_segment_ptr 1
		.amdhsa_user_sgpr_dispatch_id 0
		.amdhsa_user_sgpr_flat_scratch_init 0
		.amdhsa_user_sgpr_private_segment_size 0
		.amdhsa_wavefront_size32 1
		.amdhsa_uses_dynamic_stack 0
		.amdhsa_system_sgpr_private_segment_wavefront_offset 0
		.amdhsa_system_sgpr_workgroup_id_x 1
		.amdhsa_system_sgpr_workgroup_id_y 0
		.amdhsa_system_sgpr_workgroup_id_z 0
		.amdhsa_system_sgpr_workgroup_info 0
		.amdhsa_system_vgpr_workitem_id 1
		.amdhsa_next_free_vgpr 34
		.amdhsa_next_free_sgpr 22
		.amdhsa_reserve_vcc 1
		.amdhsa_reserve_flat_scratch 0
		.amdhsa_float_round_mode_32 0
		.amdhsa_float_round_mode_16_64 0
		.amdhsa_float_denorm_mode_32 3
		.amdhsa_float_denorm_mode_16_64 3
		.amdhsa_dx10_clamp 1
		.amdhsa_ieee_mode 1
		.amdhsa_fp16_overflow 0
		.amdhsa_workgroup_processor_mode 1
		.amdhsa_memory_ordered 1
		.amdhsa_forward_progress 1
		.amdhsa_shared_vgpr_count 0
		.amdhsa_exception_fp_ieee_invalid_op 0
		.amdhsa_exception_fp_denorm_src 0
		.amdhsa_exception_fp_ieee_div_zero 0
		.amdhsa_exception_fp_ieee_overflow 0
		.amdhsa_exception_fp_ieee_underflow 0
		.amdhsa_exception_fp_ieee_inexact 0
		.amdhsa_exception_int_div_zero 0
	.end_amdhsa_kernel
	.section	.text._ZN9rocsparseL14nnz_kernel_rowILi64ELi16EiiDF16_EEv16rocsparse_order_T2_S2_PKT3_lPT1_,"axG",@progbits,_ZN9rocsparseL14nnz_kernel_rowILi64ELi16EiiDF16_EEv16rocsparse_order_T2_S2_PKT3_lPT1_,comdat
.Lfunc_end0:
	.size	_ZN9rocsparseL14nnz_kernel_rowILi64ELi16EiiDF16_EEv16rocsparse_order_T2_S2_PKT3_lPT1_, .Lfunc_end0-_ZN9rocsparseL14nnz_kernel_rowILi64ELi16EiiDF16_EEv16rocsparse_order_T2_S2_PKT3_lPT1_
                                        ; -- End function
	.set _ZN9rocsparseL14nnz_kernel_rowILi64ELi16EiiDF16_EEv16rocsparse_order_T2_S2_PKT3_lPT1_.num_vgpr, 34
	.set _ZN9rocsparseL14nnz_kernel_rowILi64ELi16EiiDF16_EEv16rocsparse_order_T2_S2_PKT3_lPT1_.num_agpr, 0
	.set _ZN9rocsparseL14nnz_kernel_rowILi64ELi16EiiDF16_EEv16rocsparse_order_T2_S2_PKT3_lPT1_.numbered_sgpr, 22
	.set _ZN9rocsparseL14nnz_kernel_rowILi64ELi16EiiDF16_EEv16rocsparse_order_T2_S2_PKT3_lPT1_.num_named_barrier, 0
	.set _ZN9rocsparseL14nnz_kernel_rowILi64ELi16EiiDF16_EEv16rocsparse_order_T2_S2_PKT3_lPT1_.private_seg_size, 0
	.set _ZN9rocsparseL14nnz_kernel_rowILi64ELi16EiiDF16_EEv16rocsparse_order_T2_S2_PKT3_lPT1_.uses_vcc, 1
	.set _ZN9rocsparseL14nnz_kernel_rowILi64ELi16EiiDF16_EEv16rocsparse_order_T2_S2_PKT3_lPT1_.uses_flat_scratch, 0
	.set _ZN9rocsparseL14nnz_kernel_rowILi64ELi16EiiDF16_EEv16rocsparse_order_T2_S2_PKT3_lPT1_.has_dyn_sized_stack, 0
	.set _ZN9rocsparseL14nnz_kernel_rowILi64ELi16EiiDF16_EEv16rocsparse_order_T2_S2_PKT3_lPT1_.has_recursion, 0
	.set _ZN9rocsparseL14nnz_kernel_rowILi64ELi16EiiDF16_EEv16rocsparse_order_T2_S2_PKT3_lPT1_.has_indirect_call, 0
	.section	.AMDGPU.csdata,"",@progbits
; Kernel info:
; codeLenInByte = 5904
; TotalNumSgprs: 24
; NumVgprs: 34
; ScratchSize: 0
; MemoryBound: 0
; FloatMode: 240
; IeeeMode: 1
; LDSByteSize: 16384 bytes/workgroup (compile time only)
; SGPRBlocks: 0
; VGPRBlocks: 4
; NumSGPRsForWavesPerEU: 24
; NumVGPRsForWavesPerEU: 34
; Occupancy: 16
; WaveLimiterHint : 0
; COMPUTE_PGM_RSRC2:SCRATCH_EN: 0
; COMPUTE_PGM_RSRC2:USER_SGPR: 6
; COMPUTE_PGM_RSRC2:TRAP_HANDLER: 0
; COMPUTE_PGM_RSRC2:TGID_X_EN: 1
; COMPUTE_PGM_RSRC2:TGID_Y_EN: 0
; COMPUTE_PGM_RSRC2:TGID_Z_EN: 0
; COMPUTE_PGM_RSRC2:TIDIG_COMP_CNT: 1
	.section	.text._ZN9rocsparseL14nnz_kernel_colILi256EiiDF16_EEv16rocsparse_order_T1_S2_PKT2_lPT0_,"axG",@progbits,_ZN9rocsparseL14nnz_kernel_colILi256EiiDF16_EEv16rocsparse_order_T1_S2_PKT2_lPT0_,comdat
	.globl	_ZN9rocsparseL14nnz_kernel_colILi256EiiDF16_EEv16rocsparse_order_T1_S2_PKT2_lPT0_ ; -- Begin function _ZN9rocsparseL14nnz_kernel_colILi256EiiDF16_EEv16rocsparse_order_T1_S2_PKT2_lPT0_
	.p2align	8
	.type	_ZN9rocsparseL14nnz_kernel_colILi256EiiDF16_EEv16rocsparse_order_T1_S2_PKT2_lPT0_,@function
_ZN9rocsparseL14nnz_kernel_colILi256EiiDF16_EEv16rocsparse_order_T1_S2_PKT2_lPT0_: ; @_ZN9rocsparseL14nnz_kernel_colILi256EiiDF16_EEv16rocsparse_order_T1_S2_PKT2_lPT0_
; %bb.0:
	s_clause 0x1
	s_load_dwordx2 s[8:9], s[4:5], 0x0
	s_load_dwordx4 s[0:3], s[4:5], 0x10
	s_waitcnt lgkmcnt(0)
	s_ashr_i32 s7, s9, 31
	s_lshr_b32 s7, s7, 24
	s_add_i32 s7, s9, s7
	s_and_b32 s10, s7, 0xffffff00
	s_cmp_eq_u32 s8, 1
	s_cbranch_scc1 .LBB1_6
; %bb.1:
	v_mov_b32_e32 v5, 0
	s_cmpk_lt_i32 s9, 0x100
	s_cbranch_scc1 .LBB1_7
; %bb.2:
	v_mad_u64_u32 v[1:2], null, s2, v0, 0
	s_ashr_i32 s7, s6, 31
	v_mov_b32_e32 v5, 0
	s_lshl_b64 s[12:13], s[6:7], 1
	s_add_u32 s7, s0, s12
	s_addc_u32 s8, s1, s13
	v_mad_u64_u32 v[2:3], null, s3, v0, v[2:3]
	s_lshl_b64 s[12:13], s[2:3], 9
	v_lshlrev_b64 v[1:2], 1, v[1:2]
	v_add_co_u32 v1, vcc_lo, s7, v1
	v_add_co_ci_u32_e64 v2, null, s8, v2, vcc_lo
	s_mov_b32 s7, 0
	s_branch .LBB1_4
	.p2align	6
.LBB1_3:                                ;   in Loop: Header=BB1_4 Depth=1
	s_or_b32 exec_lo, exec_lo, s8
	v_add_co_u32 v1, vcc_lo, v1, s12
	v_add_co_ci_u32_e64 v2, null, s13, v2, vcc_lo
	s_addk_i32 s7, 0x100
	s_cmp_ge_i32 s7, s10
	s_cbranch_scc1 .LBB1_7
.LBB1_4:                                ; =>This Inner Loop Header: Depth=1
	v_add_nc_u32_e32 v3, s7, v0
	s_mov_b32 s8, exec_lo
	v_cmpx_gt_i32_e64 s9, v3
	s_cbranch_execz .LBB1_3
; %bb.5:                                ;   in Loop: Header=BB1_4 Depth=1
	global_load_ushort v3, v[1:2], off
	s_waitcnt vmcnt(0)
	v_cmp_neq_f16_e32 vcc_lo, 0, v3
	v_add_co_ci_u32_e64 v5, null, 0, v5, vcc_lo
	s_branch .LBB1_3
.LBB1_6:
                                        ; implicit-def: $vgpr5
	s_load_dwordx2 s[4:5], s[4:5], 0x20
	s_cbranch_execnz .LBB1_10
	s_branch .LBB1_16
.LBB1_7:
	v_add_nc_u32_e32 v1, s10, v0
	s_mov_b32 s8, exec_lo
	v_cmpx_gt_i32_e64 s9, v1
	s_cbranch_execz .LBB1_9
; %bb.8:
	v_ashrrev_i32_e32 v3, 31, v1
	v_mul_lo_u32 v4, s3, v1
	v_mad_u64_u32 v[1:2], null, s2, v1, 0
	s_ashr_i32 s7, s6, 31
	v_mul_lo_u32 v3, s2, v3
	s_lshl_b64 s[12:13], s[6:7], 1
	v_add3_u32 v2, v2, v3, v4
	v_lshlrev_b64 v[1:2], 1, v[1:2]
	v_add_co_u32 v1, vcc_lo, s0, v1
	v_add_co_ci_u32_e64 v2, null, s1, v2, vcc_lo
	v_add_co_u32 v1, vcc_lo, v1, s12
	v_add_co_ci_u32_e64 v2, null, s13, v2, vcc_lo
	global_load_ushort v1, v[1:2], off
	s_waitcnt vmcnt(0)
	v_cmp_neq_f16_e32 vcc_lo, 0, v1
	v_add_co_ci_u32_e64 v5, null, 0, v5, vcc_lo
.LBB1_9:
	s_or_b32 exec_lo, exec_lo, s8
	s_load_dwordx2 s[4:5], s[4:5], 0x20
	s_branch .LBB1_16
.LBB1_10:
	v_cmp_gt_i32_e32 vcc_lo, s9, v0
	s_ashr_i32 s7, s6, 31
	s_mul_hi_u32 s8, s2, s6
	s_mul_i32 s7, s2, s7
	s_mul_i32 s3, s3, s6
	v_cndmask_b32_e32 v1, 0, v0, vcc_lo
	s_add_i32 s7, s8, s7
	s_mul_i32 s2, s2, s6
	s_add_i32 s3, s7, s3
	v_mov_b32_e32 v5, 0
	v_lshlrev_b32_e32 v1, 1, v1
	s_lshl_b64 s[2:3], s[2:3], 1
	s_add_u32 s0, s0, s2
	s_addc_u32 s1, s1, s3
	v_add_co_u32 v1, s0, s0, v1
	v_add_co_ci_u32_e64 v2, null, s1, 0, s0
	s_cmpk_lt_i32 s9, 0x100
	s_cbranch_scc1 .LBB1_13
; %bb.11:
	v_mov_b32_e32 v4, v2
	v_mov_b32_e32 v5, 0
	;; [unrolled: 1-line block ×3, first 2 shown]
	s_mov_b32 s0, 0
.LBB1_12:                               ; =>This Inner Loop Header: Depth=1
	global_load_ushort v6, v[3:4], off
	v_add_co_u32 v3, vcc_lo, 0x200, v3
	v_add_co_ci_u32_e64 v4, null, 0, v4, vcc_lo
	s_addk_i32 s0, 0x100
	s_cmp_ge_i32 s0, s10
	s_waitcnt vmcnt(0)
	v_cmp_neq_f16_e32 vcc_lo, 0, v6
	v_add_co_ci_u32_e64 v5, null, 0, v5, vcc_lo
	s_cbranch_scc0 .LBB1_12
.LBB1_13:
	v_add_nc_u32_e32 v3, s10, v0
	s_mov_b32 s0, exec_lo
	v_cmpx_gt_i32_e64 s9, v3
	s_cbranch_execz .LBB1_15
; %bb.14:
	s_ashr_i32 s11, s10, 31
	s_lshl_b64 s[2:3], s[10:11], 1
	v_add_co_u32 v1, vcc_lo, v1, s2
	v_add_co_ci_u32_e64 v2, null, s3, v2, vcc_lo
	global_load_ushort v1, v[1:2], off
	s_waitcnt vmcnt(0)
	v_cmp_neq_f16_e32 vcc_lo, 0, v1
	v_add_co_ci_u32_e64 v5, null, 0, v5, vcc_lo
.LBB1_15:
	s_or_b32 exec_lo, exec_lo, s0
.LBB1_16:
	v_lshlrev_b32_e32 v1, 2, v0
	s_cmpk_lt_i32 s9, 0x100
	s_mov_b32 s0, -1
	v_cmp_eq_u32_e32 vcc_lo, 0, v0
	ds_write_b32 v1, v5
	s_waitcnt lgkmcnt(0)
	s_cbranch_scc0 .LBB1_27
; %bb.17:
	s_cmp_gt_i32 s9, 1
	s_mov_b32 s2, 1
	s_cselect_b32 s0, -1, 0
	s_barrier
	s_and_b32 s1, vcc_lo, s0
	buffer_gl0_inv
	s_and_saveexec_b32 s0, s1
	s_cbranch_execz .LBB1_26
; %bb.18:
	v_mov_b32_e32 v2, 0
	s_add_i32 s3, s9, -2
	s_add_i32 s1, s9, -1
	s_cmp_lt_u32 s3, 7
	ds_read_b32 v2, v2
	s_cbranch_scc1 .LBB1_22
; %bb.19:
	s_and_b32 s2, s1, -8
	s_mov_b32 s7, 0
	s_mov_b32 s3, 4
	.p2align	6
.LBB1_20:                               ; =>This Inner Loop Header: Depth=1
	v_mov_b32_e32 v9, s3
	s_mov_b32 s8, s7
	s_add_i32 s7, s7, 8
	s_add_i32 s3, s3, 32
	s_cmp_lg_u32 s2, s7
	ds_read2_b32 v[3:4], v9 offset1:1
	ds_read2_b32 v[5:6], v9 offset0:2 offset1:3
	ds_read2_b32 v[7:8], v9 offset0:4 offset1:5
	;; [unrolled: 1-line block ×3, first 2 shown]
	s_waitcnt lgkmcnt(3)
	v_add_nc_u32_e32 v2, v2, v3
	v_add_nc_u32_e32 v2, v2, v4
	s_waitcnt lgkmcnt(2)
	v_add_nc_u32_e32 v2, v2, v5
	v_add_nc_u32_e32 v2, v2, v6
	;; [unrolled: 3-line block ×4, first 2 shown]
	s_cbranch_scc1 .LBB1_20
; %bb.21:
	s_add_i32 s2, s8, 9
.LBB1_22:
	s_and_b32 s1, s1, 7
	s_cmp_eq_u32 s1, 0
	s_cbranch_scc1 .LBB1_25
; %bb.23:
	s_lshl_b32 s2, s2, 2
.LBB1_24:                               ; =>This Inner Loop Header: Depth=1
	v_mov_b32_e32 v3, s2
	s_add_i32 s1, s1, -1
	s_add_i32 s2, s2, 4
	s_cmp_lg_u32 s1, 0
	ds_read_b32 v3, v3
	s_waitcnt lgkmcnt(0)
	v_add_nc_u32_e32 v2, v2, v3
	s_cbranch_scc1 .LBB1_24
.LBB1_25:
	v_mov_b32_e32 v3, 0
	s_waitcnt lgkmcnt(0)
	ds_write_b32 v3, v2
.LBB1_26:
	s_or_b32 exec_lo, exec_lo, s0
	s_mov_b32 s0, 0
	s_waitcnt lgkmcnt(0)
	s_barrier
.LBB1_27:
	s_and_b32 vcc_lo, exec_lo, s0
	s_cbranch_vccz .LBB1_45
; %bb.28:
	s_mov_b32 s0, exec_lo
	s_barrier
	buffer_gl0_inv
	v_cmpx_gt_u32_e32 0x80, v0
	s_cbranch_execz .LBB1_30
; %bb.29:
	ds_read2st64_b32 v[2:3], v1 offset1:2
	s_waitcnt lgkmcnt(0)
	v_add_nc_u32_e32 v2, v2, v3
	ds_write_b32 v1, v2
.LBB1_30:
	s_or_b32 exec_lo, exec_lo, s0
	s_mov_b32 s0, exec_lo
	s_waitcnt lgkmcnt(0)
	s_barrier
	buffer_gl0_inv
	v_cmpx_gt_u32_e32 64, v0
	s_cbranch_execz .LBB1_32
; %bb.31:
	ds_read2st64_b32 v[2:3], v1 offset1:1
	s_waitcnt lgkmcnt(0)
	v_add_nc_u32_e32 v2, v2, v3
	ds_write_b32 v1, v2
.LBB1_32:
	s_or_b32 exec_lo, exec_lo, s0
	s_mov_b32 s0, exec_lo
	s_waitcnt lgkmcnt(0)
	s_barrier
	buffer_gl0_inv
	v_cmpx_gt_u32_e32 32, v0
	s_cbranch_execz .LBB1_34
; %bb.33:
	ds_read2_b32 v[2:3], v1 offset1:32
	s_waitcnt lgkmcnt(0)
	v_add_nc_u32_e32 v2, v2, v3
	ds_write_b32 v1, v2
.LBB1_34:
	s_or_b32 exec_lo, exec_lo, s0
	s_mov_b32 s0, exec_lo
	s_waitcnt lgkmcnt(0)
	s_barrier
	buffer_gl0_inv
	v_cmpx_gt_u32_e32 16, v0
	s_cbranch_execz .LBB1_36
; %bb.35:
	ds_read2_b32 v[2:3], v1 offset1:16
	s_waitcnt lgkmcnt(0)
	v_add_nc_u32_e32 v2, v2, v3
	ds_write_b32 v1, v2
.LBB1_36:
	;; [unrolled: 13-line block ×5, first 2 shown]
	s_or_b32 exec_lo, exec_lo, s0
	s_mov_b32 s0, exec_lo
	s_waitcnt lgkmcnt(0)
	s_barrier
	buffer_gl0_inv
	v_cmpx_eq_u32_e32 0, v0
	s_cbranch_execz .LBB1_44
; %bb.43:
	v_mov_b32_e32 v3, 0
	ds_read_b64 v[1:2], v3
	s_waitcnt lgkmcnt(0)
	v_add_nc_u32_e32 v1, v1, v2
	ds_write_b32 v3, v1
.LBB1_44:
	s_or_b32 exec_lo, exec_lo, s0
	s_waitcnt lgkmcnt(0)
	s_barrier
.LBB1_45:
	buffer_gl0_inv
	s_mov_b32 s0, exec_lo
	v_cmpx_eq_u32_e32 0, v0
	s_cbranch_execz .LBB1_47
; %bb.46:
	v_mov_b32_e32 v0, 0
	s_ashr_i32 s7, s6, 31
	s_lshl_b64 s[0:1], s[6:7], 2
	s_add_u32 s0, s4, s0
	ds_read_b32 v1, v0
	s_addc_u32 s1, s5, s1
	s_waitcnt lgkmcnt(0)
	global_store_dword v0, v1, s[0:1]
.LBB1_47:
	s_endpgm
	.section	.rodata,"a",@progbits
	.p2align	6, 0x0
	.amdhsa_kernel _ZN9rocsparseL14nnz_kernel_colILi256EiiDF16_EEv16rocsparse_order_T1_S2_PKT2_lPT0_
		.amdhsa_group_segment_fixed_size 1024
		.amdhsa_private_segment_fixed_size 0
		.amdhsa_kernarg_size 40
		.amdhsa_user_sgpr_count 6
		.amdhsa_user_sgpr_private_segment_buffer 1
		.amdhsa_user_sgpr_dispatch_ptr 0
		.amdhsa_user_sgpr_queue_ptr 0
		.amdhsa_user_sgpr_kernarg_segment_ptr 1
		.amdhsa_user_sgpr_dispatch_id 0
		.amdhsa_user_sgpr_flat_scratch_init 0
		.amdhsa_user_sgpr_private_segment_size 0
		.amdhsa_wavefront_size32 1
		.amdhsa_uses_dynamic_stack 0
		.amdhsa_system_sgpr_private_segment_wavefront_offset 0
		.amdhsa_system_sgpr_workgroup_id_x 1
		.amdhsa_system_sgpr_workgroup_id_y 0
		.amdhsa_system_sgpr_workgroup_id_z 0
		.amdhsa_system_sgpr_workgroup_info 0
		.amdhsa_system_vgpr_workitem_id 0
		.amdhsa_next_free_vgpr 11
		.amdhsa_next_free_sgpr 14
		.amdhsa_reserve_vcc 1
		.amdhsa_reserve_flat_scratch 0
		.amdhsa_float_round_mode_32 0
		.amdhsa_float_round_mode_16_64 0
		.amdhsa_float_denorm_mode_32 3
		.amdhsa_float_denorm_mode_16_64 3
		.amdhsa_dx10_clamp 1
		.amdhsa_ieee_mode 1
		.amdhsa_fp16_overflow 0
		.amdhsa_workgroup_processor_mode 1
		.amdhsa_memory_ordered 1
		.amdhsa_forward_progress 1
		.amdhsa_shared_vgpr_count 0
		.amdhsa_exception_fp_ieee_invalid_op 0
		.amdhsa_exception_fp_denorm_src 0
		.amdhsa_exception_fp_ieee_div_zero 0
		.amdhsa_exception_fp_ieee_overflow 0
		.amdhsa_exception_fp_ieee_underflow 0
		.amdhsa_exception_fp_ieee_inexact 0
		.amdhsa_exception_int_div_zero 0
	.end_amdhsa_kernel
	.section	.text._ZN9rocsparseL14nnz_kernel_colILi256EiiDF16_EEv16rocsparse_order_T1_S2_PKT2_lPT0_,"axG",@progbits,_ZN9rocsparseL14nnz_kernel_colILi256EiiDF16_EEv16rocsparse_order_T1_S2_PKT2_lPT0_,comdat
.Lfunc_end1:
	.size	_ZN9rocsparseL14nnz_kernel_colILi256EiiDF16_EEv16rocsparse_order_T1_S2_PKT2_lPT0_, .Lfunc_end1-_ZN9rocsparseL14nnz_kernel_colILi256EiiDF16_EEv16rocsparse_order_T1_S2_PKT2_lPT0_
                                        ; -- End function
	.set _ZN9rocsparseL14nnz_kernel_colILi256EiiDF16_EEv16rocsparse_order_T1_S2_PKT2_lPT0_.num_vgpr, 11
	.set _ZN9rocsparseL14nnz_kernel_colILi256EiiDF16_EEv16rocsparse_order_T1_S2_PKT2_lPT0_.num_agpr, 0
	.set _ZN9rocsparseL14nnz_kernel_colILi256EiiDF16_EEv16rocsparse_order_T1_S2_PKT2_lPT0_.numbered_sgpr, 14
	.set _ZN9rocsparseL14nnz_kernel_colILi256EiiDF16_EEv16rocsparse_order_T1_S2_PKT2_lPT0_.num_named_barrier, 0
	.set _ZN9rocsparseL14nnz_kernel_colILi256EiiDF16_EEv16rocsparse_order_T1_S2_PKT2_lPT0_.private_seg_size, 0
	.set _ZN9rocsparseL14nnz_kernel_colILi256EiiDF16_EEv16rocsparse_order_T1_S2_PKT2_lPT0_.uses_vcc, 1
	.set _ZN9rocsparseL14nnz_kernel_colILi256EiiDF16_EEv16rocsparse_order_T1_S2_PKT2_lPT0_.uses_flat_scratch, 0
	.set _ZN9rocsparseL14nnz_kernel_colILi256EiiDF16_EEv16rocsparse_order_T1_S2_PKT2_lPT0_.has_dyn_sized_stack, 0
	.set _ZN9rocsparseL14nnz_kernel_colILi256EiiDF16_EEv16rocsparse_order_T1_S2_PKT2_lPT0_.has_recursion, 0
	.set _ZN9rocsparseL14nnz_kernel_colILi256EiiDF16_EEv16rocsparse_order_T1_S2_PKT2_lPT0_.has_indirect_call, 0
	.section	.AMDGPU.csdata,"",@progbits
; Kernel info:
; codeLenInByte = 1492
; TotalNumSgprs: 16
; NumVgprs: 11
; ScratchSize: 0
; MemoryBound: 0
; FloatMode: 240
; IeeeMode: 1
; LDSByteSize: 1024 bytes/workgroup (compile time only)
; SGPRBlocks: 0
; VGPRBlocks: 1
; NumSGPRsForWavesPerEU: 16
; NumVGPRsForWavesPerEU: 11
; Occupancy: 16
; WaveLimiterHint : 0
; COMPUTE_PGM_RSRC2:SCRATCH_EN: 0
; COMPUTE_PGM_RSRC2:USER_SGPR: 6
; COMPUTE_PGM_RSRC2:TRAP_HANDLER: 0
; COMPUTE_PGM_RSRC2:TGID_X_EN: 1
; COMPUTE_PGM_RSRC2:TGID_Y_EN: 0
; COMPUTE_PGM_RSRC2:TGID_Z_EN: 0
; COMPUTE_PGM_RSRC2:TIDIG_COMP_CNT: 0
	.section	.text._ZN9rocsparseL14nnz_kernel_rowILi64ELi16Eii18rocsparse_bfloat16EEv16rocsparse_order_T2_S3_PKT3_lPT1_,"axG",@progbits,_ZN9rocsparseL14nnz_kernel_rowILi64ELi16Eii18rocsparse_bfloat16EEv16rocsparse_order_T2_S3_PKT3_lPT1_,comdat
	.globl	_ZN9rocsparseL14nnz_kernel_rowILi64ELi16Eii18rocsparse_bfloat16EEv16rocsparse_order_T2_S3_PKT3_lPT1_ ; -- Begin function _ZN9rocsparseL14nnz_kernel_rowILi64ELi16Eii18rocsparse_bfloat16EEv16rocsparse_order_T2_S3_PKT3_lPT1_
	.p2align	8
	.type	_ZN9rocsparseL14nnz_kernel_rowILi64ELi16Eii18rocsparse_bfloat16EEv16rocsparse_order_T2_S3_PKT3_lPT1_,@function
_ZN9rocsparseL14nnz_kernel_rowILi64ELi16Eii18rocsparse_bfloat16EEv16rocsparse_order_T2_S3_PKT3_lPT1_: ; @_ZN9rocsparseL14nnz_kernel_rowILi64ELi16Eii18rocsparse_bfloat16EEv16rocsparse_order_T2_S3_PKT3_lPT1_
; %bb.0:
	s_clause 0x2
	s_load_dword s0, s[4:5], 0x34
	s_load_dwordx8 s[8:15], s[4:5], 0x0
	s_load_dwordx2 s[16:17], s[4:5], 0x20
	s_lshl_b32 s5, s6, 8
	s_mov_b32 s19, 0
	s_mov_b32 s18, exec_lo
	s_waitcnt lgkmcnt(0)
	s_and_b32 s0, s0, 0xffff
	v_mad_u32_u24 v14, v1, s0, v0
	v_mov_b32_e32 v0, 0
	s_ashr_i32 s0, s10, 31
	s_lshr_b32 s0, s0, 26
	v_and_b32_e32 v15, 63, v14
	v_lshrrev_b32_e32 v2, 4, v14
	v_mov_b32_e32 v1, v0
	v_mov_b32_e32 v3, v0
	s_add_i32 s11, s10, s0
	v_or_b32_e32 v10, s5, v15
	v_and_b32_e32 v8, 0x7ffffc, v2
	v_mov_b32_e32 v2, v0
	s_andn2_b32 s11, s11, 63
	v_or_b32_e32 v18, 64, v10
	v_or_b32_e32 v17, 0x80, v10
	;; [unrolled: 1-line block ×3, first 2 shown]
	v_cmpx_gt_i32_e64 s11, v8
	s_cbranch_execz .LBB2_28
; %bb.1:
	v_lshrrev_b32_e32 v27, 6, v14
	v_add_nc_u32_e32 v1, s5, v15
	v_cmp_gt_i32_e64 s0, s9, v10
	v_cmp_gt_i32_e64 s1, s9, v18
	;; [unrolled: 1-line block ×3, first 2 shown]
	v_lshlrev_b32_e32 v28, 2, v27
	v_ashrrev_i32_e32 v2, 31, v1
	v_mul_lo_u32 v9, s15, v1
	v_mad_u64_u32 v[3:4], null, s14, v1, 0
	v_or_b32_e32 v7, 3, v28
	v_mul_lo_u32 v12, s14, v2
	v_add_nc_u32_e32 v11, 64, v1
	v_or_b32_e32 v13, 2, v28
	v_lshlrev_b64 v[29:30], 1, v[1:2]
	v_mad_u64_u32 v[5:6], null, s14, v7, 0
	v_ashrrev_i32_e32 v23, 31, v11
	v_mad_u64_u32 v[21:22], null, s14, v13, 0
	v_add3_u32 v4, v4, v12, v9
	v_mul_lo_u32 v25, s15, v11
	v_mad_u64_u32 v[19:20], null, s14, v11, 0
	v_mov_b32_e32 v2, v6
	v_lshlrev_b32_e32 v31, 3, v27
	v_add_nc_u32_e32 v32, 0x80, v1
	v_cmp_gt_i32_e64 s3, s9, v16
	s_cmp_lg_u32 s8, 1
	v_mad_u64_u32 v[6:7], null, s15, v7, v[2:3]
	v_mul_lo_u32 v7, s14, v23
	v_lshlrev_b64 v[3:4], 1, v[3:4]
	v_mov_b32_e32 v2, v22
	v_mad_u64_u32 v[23:24], null, s14, v28, s[14:15]
	v_ashrrev_i32_e32 v33, 31, v32
	v_lshlrev_b64 v[5:6], 1, v[5:6]
	v_add_co_u32 v9, vcc_lo, v3, v31
	v_add3_u32 v20, v20, v7, v25
	v_mad_u64_u32 v[25:26], null, s15, v13, v[2:3]
	v_add_co_ci_u32_e64 v11, null, 0, v4, vcc_lo
	v_add_co_u32 v12, vcc_lo, v5, v29
	v_add_co_ci_u32_e64 v13, null, v6, v30, vcc_lo
	v_lshlrev_b64 v[2:3], 1, v[19:20]
	v_mad_u64_u32 v[5:6], null, s14, v32, 0
	v_mov_b32_e32 v22, v25
	v_mul_lo_u32 v7, s14, v33
	v_mov_b32_e32 v4, v24
	v_mul_lo_u32 v26, s15, v32
	v_add_co_u32 v19, vcc_lo, v2, v31
	v_add_co_ci_u32_e64 v20, null, 0, v3, vcc_lo
	v_mad_u64_u32 v[24:25], null, s15, v28, v[4:5]
	v_lshlrev_b64 v[3:4], 1, v[21:22]
	v_add_nc_u32_e32 v25, 0xc0, v1
	v_add3_u32 v6, v6, v7, v26
	v_mad_u64_u32 v[1:2], null, s14, v27, 0
	s_cselect_b32 s20, -1, 0
	v_add_co_u32 v21, vcc_lo, v3, v29
	v_ashrrev_i32_e32 v28, 31, v25
	v_add_co_ci_u32_e64 v22, null, v4, v30, vcc_lo
	v_lshlrev_b64 v[3:4], 1, v[5:6]
	v_mul_lo_u32 v32, s15, v25
	v_mul_lo_u32 v28, s14, v28
	v_mad_u64_u32 v[25:26], null, s14, v25, 0
	s_lshl_b64 s[6:7], s[14:15], 7
	v_mad_u64_u32 v[5:6], null, s15, v27, v[2:3]
	v_lshlrev_b64 v[6:7], 1, v[23:24]
	v_add_co_u32 v23, vcc_lo, v3, v31
	v_add3_u32 v26, v26, v28, v32
	v_add_co_ci_u32_e64 v24, null, 0, v4, vcc_lo
	v_mov_b32_e32 v2, v5
	v_lshlrev_b64 v[3:4], 1, v[25:26]
	v_add_co_u32 v25, vcc_lo, v6, v29
	v_lshlrev_b64 v[1:2], 3, v[1:2]
	v_add_co_ci_u32_e64 v26, null, v7, v30, vcc_lo
	v_add_co_u32 v27, vcc_lo, v3, v31
	v_add_co_ci_u32_e64 v28, null, 0, v4, vcc_lo
	v_add_co_u32 v29, vcc_lo, v1, v29
	v_add_co_ci_u32_e64 v30, null, v2, v30, vcc_lo
	v_mov_b32_e32 v1, v0
	v_mov_b32_e32 v2, v0
	;; [unrolled: 1-line block ×4, first 2 shown]
	s_branch .LBB2_4
.LBB2_2:                                ;   in Loop: Header=BB2_4 Depth=1
	v_mov_b32_e32 v0, v4
	v_mov_b32_e32 v1, v5
	;; [unrolled: 1-line block ×4, first 2 shown]
.LBB2_3:                                ;   in Loop: Header=BB2_4 Depth=1
	s_or_b32 exec_lo, exec_lo, s4
	v_add_co_u32 v9, vcc_lo, 0x80, v9
	v_add_co_ci_u32_e64 v11, null, 0, v11, vcc_lo
	v_add_co_u32 v12, vcc_lo, v12, s6
	v_add_co_ci_u32_e64 v13, null, s7, v13, vcc_lo
	;; [unrolled: 2-line block ×4, first 2 shown]
	v_add_co_u32 v23, vcc_lo, 0x80, v23
	v_add_nc_u32_e32 v8, 64, v8
	v_add_co_ci_u32_e64 v24, null, 0, v24, vcc_lo
	v_add_co_u32 v25, vcc_lo, v25, s6
	v_add_co_ci_u32_e64 v26, null, s7, v26, vcc_lo
	v_add_co_u32 v27, vcc_lo, 0x80, v27
	v_add_co_ci_u32_e64 v28, null, 0, v28, vcc_lo
	v_cmp_le_i32_e32 vcc_lo, s11, v8
	v_add_co_u32 v29, s4, v29, s6
	v_add_co_ci_u32_e64 v30, null, s7, v30, s4
	s_or_b32 s19, vcc_lo, s19
	s_andn2_b32 exec_lo, exec_lo, s19
	s_cbranch_execz .LBB2_27
.LBB2_4:                                ; =>This Inner Loop Header: Depth=1
	s_and_saveexec_b32 s4, s0
	s_cbranch_execnz .LBB2_8
; %bb.5:                                ;   in Loop: Header=BB2_4 Depth=1
	s_or_b32 exec_lo, exec_lo, s4
	s_and_saveexec_b32 s4, s1
	s_cbranch_execnz .LBB2_13
.LBB2_6:                                ;   in Loop: Header=BB2_4 Depth=1
	s_or_b32 exec_lo, exec_lo, s4
	s_and_saveexec_b32 s4, s2
	s_cbranch_execnz .LBB2_18
.LBB2_7:                                ;   in Loop: Header=BB2_4 Depth=1
	s_or_b32 exec_lo, exec_lo, s4
	s_and_saveexec_b32 s4, s3
	s_cbranch_execz .LBB2_3
	s_branch .LBB2_23
.LBB2_8:                                ;   in Loop: Header=BB2_4 Depth=1
	v_add_nc_u32_e32 v32, 1, v0
	s_andn2_b32 vcc_lo, exec_lo, s20
	s_mov_b32 s21, -1
                                        ; implicit-def: $vgpr4_vgpr5_vgpr6_vgpr7
	s_cbranch_vccnz .LBB2_10
; %bb.9:                                ;   in Loop: Header=BB2_4 Depth=1
	v_add_co_u32 v4, vcc_lo, s12, v9
	v_add_co_ci_u32_e64 v5, null, s13, v11, vcc_lo
	s_mov_b32 s21, 0
	global_load_dwordx2 v[4:5], v[4:5], off
	s_waitcnt vmcnt(0)
	v_and_b32_e32 v6, 0x7fff, v4
	v_and_b32_sdwa v4, v4, v31 dst_sel:DWORD dst_unused:UNUSED_PAD src0_sel:WORD_1 src1_sel:DWORD
	v_cmp_eq_u16_e32 vcc_lo, 0, v6
	v_cndmask_b32_e32 v6, v32, v0, vcc_lo
	v_cmp_eq_u16_e32 vcc_lo, 0, v4
	v_add_nc_u32_e32 v7, 1, v6
	v_cndmask_b32_e32 v4, v7, v6, vcc_lo
	v_and_b32_e32 v6, 0x7fff, v5
	v_add_nc_u32_e32 v7, 1, v4
	v_cmp_eq_u16_e32 vcc_lo, 0, v6
	v_mov_b32_e32 v6, v2
	v_cndmask_b32_e32 v4, v7, v4, vcc_lo
	v_and_b32_sdwa v7, v5, v31 dst_sel:DWORD dst_unused:UNUSED_PAD src0_sel:WORD_1 src1_sel:DWORD
	v_mov_b32_e32 v5, v1
	v_add_nc_u32_e32 v33, 1, v4
	v_cmp_eq_u16_e32 vcc_lo, 0, v7
	v_mov_b32_e32 v7, v3
	v_cndmask_b32_e32 v4, v33, v4, vcc_lo
.LBB2_10:                               ;   in Loop: Header=BB2_4 Depth=1
	s_andn2_b32 vcc_lo, exec_lo, s21
	s_cbranch_vccnz .LBB2_12
; %bb.11:                               ;   in Loop: Header=BB2_4 Depth=1
	v_add_co_u32 v4, vcc_lo, s12, v29
	v_add_co_ci_u32_e64 v5, null, s13, v30, vcc_lo
	global_load_ushort v6, v[4:5], off
	v_add_co_u32 v4, vcc_lo, s12, v25
	v_add_co_ci_u32_e64 v5, null, s13, v26, vcc_lo
	global_load_ushort v7, v[4:5], off
	;; [unrolled: 3-line block ×4, first 2 shown]
	s_waitcnt vmcnt(3)
	v_and_b32_e32 v5, 0x7fff, v6
	v_cmp_eq_u16_e32 vcc_lo, 0, v5
	s_waitcnt vmcnt(2)
	v_and_b32_e32 v5, 0x7fff, v7
	v_cndmask_b32_e32 v0, v32, v0, vcc_lo
	v_cmp_eq_u16_e32 vcc_lo, 0, v5
	v_add_nc_u32_e32 v6, 1, v0
	s_waitcnt vmcnt(1)
	v_and_b32_e32 v5, 0x7fff, v33
	v_cndmask_b32_e32 v0, v6, v0, vcc_lo
	v_cmp_eq_u16_e32 vcc_lo, 0, v5
	s_waitcnt vmcnt(0)
	v_and_b32_e32 v4, 0x7fff, v4
	v_add_nc_u32_e32 v6, 1, v0
	v_cndmask_b32_e32 v0, v6, v0, vcc_lo
	v_cmp_eq_u16_e32 vcc_lo, 0, v4
	v_add_nc_u32_e32 v5, 1, v0
	v_cndmask_b32_e32 v0, v5, v0, vcc_lo
	v_mov_b32_e32 v7, v3
	v_mov_b32_e32 v6, v2
	;; [unrolled: 1-line block ×4, first 2 shown]
.LBB2_12:                               ;   in Loop: Header=BB2_4 Depth=1
	v_mov_b32_e32 v0, v4
	v_mov_b32_e32 v1, v5
	;; [unrolled: 1-line block ×4, first 2 shown]
	s_or_b32 exec_lo, exec_lo, s4
	s_and_saveexec_b32 s4, s1
	s_cbranch_execz .LBB2_6
.LBB2_13:                               ;   in Loop: Header=BB2_4 Depth=1
	v_add_nc_u32_e32 v32, 1, v1
	s_andn2_b32 vcc_lo, exec_lo, s20
	s_mov_b32 s21, -1
                                        ; implicit-def: $vgpr4_vgpr5_vgpr6_vgpr7
	s_cbranch_vccnz .LBB2_15
; %bb.14:                               ;   in Loop: Header=BB2_4 Depth=1
	v_add_co_u32 v4, vcc_lo, s12, v19
	v_add_co_ci_u32_e64 v5, null, s13, v20, vcc_lo
	s_mov_b32 s21, 0
	global_load_dwordx2 v[4:5], v[4:5], off
	s_waitcnt vmcnt(0)
	v_and_b32_e32 v6, 0x7fff, v4
	v_and_b32_sdwa v4, v4, v31 dst_sel:DWORD dst_unused:UNUSED_PAD src0_sel:WORD_1 src1_sel:DWORD
	v_cmp_eq_u16_e32 vcc_lo, 0, v6
	v_cndmask_b32_e32 v6, v32, v1, vcc_lo
	v_cmp_eq_u16_e32 vcc_lo, 0, v4
	v_add_nc_u32_e32 v7, 1, v6
	v_cndmask_b32_e32 v4, v7, v6, vcc_lo
	v_and_b32_e32 v6, 0x7fff, v5
	v_and_b32_sdwa v5, v5, v31 dst_sel:DWORD dst_unused:UNUSED_PAD src0_sel:WORD_1 src1_sel:DWORD
	v_add_nc_u32_e32 v7, 1, v4
	v_cmp_eq_u16_e32 vcc_lo, 0, v6
	v_mov_b32_e32 v6, v2
	v_cndmask_b32_e32 v7, v7, v4, vcc_lo
	v_cmp_eq_u16_e32 vcc_lo, 0, v5
	v_mov_b32_e32 v4, v0
	v_add_nc_u32_e32 v33, 1, v7
	v_cndmask_b32_e32 v5, v33, v7, vcc_lo
	v_mov_b32_e32 v7, v3
.LBB2_15:                               ;   in Loop: Header=BB2_4 Depth=1
	s_andn2_b32 vcc_lo, exec_lo, s21
	s_cbranch_vccnz .LBB2_17
; %bb.16:                               ;   in Loop: Header=BB2_4 Depth=1
	v_add_co_u32 v4, vcc_lo, s12, v29
	v_add_co_ci_u32_e64 v5, null, s13, v30, vcc_lo
	global_load_ushort v6, v[4:5], off offset:128
	v_add_co_u32 v4, vcc_lo, s12, v25
	v_add_co_ci_u32_e64 v5, null, s13, v26, vcc_lo
	global_load_ushort v7, v[4:5], off offset:128
	;; [unrolled: 3-line block ×4, first 2 shown]
	s_waitcnt vmcnt(3)
	v_and_b32_e32 v5, 0x7fff, v6
	v_cmp_eq_u16_e32 vcc_lo, 0, v5
	s_waitcnt vmcnt(2)
	v_and_b32_e32 v5, 0x7fff, v7
	v_cndmask_b32_e32 v1, v32, v1, vcc_lo
	v_cmp_eq_u16_e32 vcc_lo, 0, v5
	v_add_nc_u32_e32 v6, 1, v1
	s_waitcnt vmcnt(1)
	v_and_b32_e32 v5, 0x7fff, v33
	v_cndmask_b32_e32 v1, v6, v1, vcc_lo
	v_cmp_eq_u16_e32 vcc_lo, 0, v5
	s_waitcnt vmcnt(0)
	v_and_b32_e32 v4, 0x7fff, v4
	v_add_nc_u32_e32 v6, 1, v1
	v_cndmask_b32_e32 v1, v6, v1, vcc_lo
	v_cmp_eq_u16_e32 vcc_lo, 0, v4
	v_add_nc_u32_e32 v5, 1, v1
	v_cndmask_b32_e32 v1, v5, v1, vcc_lo
	v_mov_b32_e32 v7, v3
	v_mov_b32_e32 v6, v2
	;; [unrolled: 1-line block ×4, first 2 shown]
.LBB2_17:                               ;   in Loop: Header=BB2_4 Depth=1
	v_mov_b32_e32 v0, v4
	v_mov_b32_e32 v1, v5
	;; [unrolled: 1-line block ×4, first 2 shown]
	s_or_b32 exec_lo, exec_lo, s4
	s_and_saveexec_b32 s4, s2
	s_cbranch_execz .LBB2_7
.LBB2_18:                               ;   in Loop: Header=BB2_4 Depth=1
	v_add_nc_u32_e32 v32, 1, v2
	s_andn2_b32 vcc_lo, exec_lo, s20
	s_mov_b32 s21, -1
                                        ; implicit-def: $vgpr4_vgpr5_vgpr6_vgpr7
	s_cbranch_vccnz .LBB2_20
; %bb.19:                               ;   in Loop: Header=BB2_4 Depth=1
	v_add_co_u32 v4, vcc_lo, s12, v23
	v_add_co_ci_u32_e64 v5, null, s13, v24, vcc_lo
	s_mov_b32 s21, 0
	global_load_dwordx2 v[4:5], v[4:5], off
	s_waitcnt vmcnt(0)
	v_and_b32_e32 v6, 0x7fff, v4
	v_and_b32_sdwa v4, v4, v31 dst_sel:DWORD dst_unused:UNUSED_PAD src0_sel:WORD_1 src1_sel:DWORD
	v_cmp_eq_u16_e32 vcc_lo, 0, v6
	v_cndmask_b32_e32 v6, v32, v2, vcc_lo
	v_cmp_eq_u16_e32 vcc_lo, 0, v4
	v_add_nc_u32_e32 v7, 1, v6
	v_cndmask_b32_e32 v4, v7, v6, vcc_lo
	v_and_b32_e32 v6, 0x7fff, v5
	v_add_nc_u32_e32 v7, 1, v4
	v_cmp_eq_u16_e32 vcc_lo, 0, v6
	v_cndmask_b32_e32 v6, v7, v4, vcc_lo
	v_and_b32_sdwa v7, v5, v31 dst_sel:DWORD dst_unused:UNUSED_PAD src0_sel:WORD_1 src1_sel:DWORD
	v_mov_b32_e32 v4, v0
	v_mov_b32_e32 v5, v1
	v_add_nc_u32_e32 v33, 1, v6
	v_cmp_eq_u16_e32 vcc_lo, 0, v7
	v_mov_b32_e32 v7, v3
	v_cndmask_b32_e32 v6, v33, v6, vcc_lo
.LBB2_20:                               ;   in Loop: Header=BB2_4 Depth=1
	s_andn2_b32 vcc_lo, exec_lo, s21
	s_cbranch_vccnz .LBB2_22
; %bb.21:                               ;   in Loop: Header=BB2_4 Depth=1
	v_add_co_u32 v4, vcc_lo, s12, v29
	v_add_co_ci_u32_e64 v5, null, s13, v30, vcc_lo
	global_load_ushort v6, v[4:5], off offset:256
	v_add_co_u32 v4, vcc_lo, s12, v25
	v_add_co_ci_u32_e64 v5, null, s13, v26, vcc_lo
	global_load_ushort v7, v[4:5], off offset:256
	;; [unrolled: 3-line block ×4, first 2 shown]
	s_waitcnt vmcnt(3)
	v_and_b32_e32 v5, 0x7fff, v6
	v_cmp_eq_u16_e32 vcc_lo, 0, v5
	s_waitcnt vmcnt(2)
	v_and_b32_e32 v5, 0x7fff, v7
	v_cndmask_b32_e32 v2, v32, v2, vcc_lo
	v_cmp_eq_u16_e32 vcc_lo, 0, v5
	v_add_nc_u32_e32 v6, 1, v2
	s_waitcnt vmcnt(1)
	v_and_b32_e32 v5, 0x7fff, v33
	v_cndmask_b32_e32 v2, v6, v2, vcc_lo
	v_cmp_eq_u16_e32 vcc_lo, 0, v5
	s_waitcnt vmcnt(0)
	v_and_b32_e32 v4, 0x7fff, v4
	v_add_nc_u32_e32 v6, 1, v2
	v_cndmask_b32_e32 v2, v6, v2, vcc_lo
	v_cmp_eq_u16_e32 vcc_lo, 0, v4
	v_add_nc_u32_e32 v5, 1, v2
	v_cndmask_b32_e32 v2, v5, v2, vcc_lo
	v_mov_b32_e32 v7, v3
	v_mov_b32_e32 v5, v1
	;; [unrolled: 1-line block ×4, first 2 shown]
.LBB2_22:                               ;   in Loop: Header=BB2_4 Depth=1
	v_mov_b32_e32 v0, v4
	v_mov_b32_e32 v1, v5
	;; [unrolled: 1-line block ×4, first 2 shown]
	s_or_b32 exec_lo, exec_lo, s4
	s_and_saveexec_b32 s4, s3
	s_cbranch_execz .LBB2_3
.LBB2_23:                               ;   in Loop: Header=BB2_4 Depth=1
	v_add_nc_u32_e32 v32, 1, v3
	s_andn2_b32 vcc_lo, exec_lo, s20
	s_mov_b32 s21, -1
                                        ; implicit-def: $vgpr4_vgpr5_vgpr6_vgpr7
	s_cbranch_vccnz .LBB2_25
; %bb.24:                               ;   in Loop: Header=BB2_4 Depth=1
	v_add_co_u32 v4, vcc_lo, s12, v27
	v_add_co_ci_u32_e64 v5, null, s13, v28, vcc_lo
	s_mov_b32 s21, 0
	global_load_dwordx2 v[4:5], v[4:5], off
	s_waitcnt vmcnt(0)
	v_and_b32_e32 v6, 0x7fff, v4
	v_and_b32_sdwa v4, v4, v31 dst_sel:DWORD dst_unused:UNUSED_PAD src0_sel:WORD_1 src1_sel:DWORD
	v_cmp_eq_u16_e32 vcc_lo, 0, v6
	v_cndmask_b32_e32 v6, v32, v3, vcc_lo
	v_cmp_eq_u16_e32 vcc_lo, 0, v4
	v_add_nc_u32_e32 v7, 1, v6
	v_cndmask_b32_e32 v4, v7, v6, vcc_lo
	v_and_b32_e32 v6, 0x7fff, v5
	v_add_nc_u32_e32 v7, 1, v4
	v_cmp_eq_u16_e32 vcc_lo, 0, v6
	v_cndmask_b32_e32 v6, v7, v4, vcc_lo
	v_and_b32_sdwa v7, v5, v31 dst_sel:DWORD dst_unused:UNUSED_PAD src0_sel:WORD_1 src1_sel:DWORD
	v_mov_b32_e32 v4, v0
	v_mov_b32_e32 v5, v1
	v_add_nc_u32_e32 v33, 1, v6
	v_cmp_eq_u16_e32 vcc_lo, 0, v7
	v_cndmask_b32_e32 v7, v33, v6, vcc_lo
	v_mov_b32_e32 v6, v2
.LBB2_25:                               ;   in Loop: Header=BB2_4 Depth=1
	s_andn2_b32 vcc_lo, exec_lo, s21
	s_cbranch_vccnz .LBB2_2
; %bb.26:                               ;   in Loop: Header=BB2_4 Depth=1
	v_add_co_u32 v4, vcc_lo, s12, v29
	v_add_co_ci_u32_e64 v5, null, s13, v30, vcc_lo
	global_load_ushort v6, v[4:5], off offset:384
	v_add_co_u32 v4, vcc_lo, s12, v25
	v_add_co_ci_u32_e64 v5, null, s13, v26, vcc_lo
	global_load_ushort v7, v[4:5], off offset:384
	v_add_co_u32 v4, vcc_lo, s12, v21
	v_add_co_ci_u32_e64 v5, null, s13, v22, vcc_lo
	global_load_ushort v33, v[4:5], off offset:384
	v_add_co_u32 v4, vcc_lo, s12, v12
	v_add_co_ci_u32_e64 v5, null, s13, v13, vcc_lo
	global_load_ushort v4, v[4:5], off offset:384
	s_waitcnt vmcnt(3)
	v_and_b32_e32 v5, 0x7fff, v6
	v_cmp_eq_u16_e32 vcc_lo, 0, v5
	s_waitcnt vmcnt(2)
	v_and_b32_e32 v5, 0x7fff, v7
	v_cndmask_b32_e32 v3, v32, v3, vcc_lo
	v_cmp_eq_u16_e32 vcc_lo, 0, v5
	v_add_nc_u32_e32 v6, 1, v3
	s_waitcnt vmcnt(1)
	v_and_b32_e32 v5, 0x7fff, v33
	v_cndmask_b32_e32 v3, v6, v3, vcc_lo
	v_cmp_eq_u16_e32 vcc_lo, 0, v5
	s_waitcnt vmcnt(0)
	v_and_b32_e32 v4, 0x7fff, v4
	v_add_nc_u32_e32 v6, 1, v3
	v_cndmask_b32_e32 v3, v6, v3, vcc_lo
	v_cmp_eq_u16_e32 vcc_lo, 0, v4
	v_add_nc_u32_e32 v5, 1, v3
	v_cndmask_b32_e32 v3, v5, v3, vcc_lo
	v_mov_b32_e32 v7, v3
	v_mov_b32_e32 v6, v2
	;; [unrolled: 1-line block ×4, first 2 shown]
	s_branch .LBB2_2
.LBB2_27:
	s_or_b32 exec_lo, exec_lo, s19
.LBB2_28:
	s_or_b32 exec_lo, exec_lo, s18
	s_sub_i32 s0, s10, s11
	s_cmp_lt_i32 s0, 1
	s_cbranch_scc1 .LBB2_134
; %bb.29:
	v_mov_b32_e32 v9, 0
	v_ashrrev_i32_e32 v11, 31, v10
	s_cmp_lg_u32 s8, 1
	s_cselect_b32 s1, -1, 0
	v_lshlrev_b64 v[4:5], 1, v[8:9]
	v_add_co_u32 v9, s0, s12, v4
	v_add_co_ci_u32_e64 v19, null, s13, v5, s0
	s_mov_b32 s0, exec_lo
	v_cmpx_gt_i32_e64 s9, v10
	s_cbranch_execnz .LBB2_33
; %bb.30:
	s_or_b32 exec_lo, exec_lo, s0
	s_mov_b32 s0, exec_lo
	v_cmpx_gt_i32_e64 s9, v18
	s_cbranch_execnz .LBB2_58
.LBB2_31:
	s_or_b32 exec_lo, exec_lo, s0
	s_mov_b32 s0, exec_lo
	v_cmpx_gt_i32_e64 s9, v17
	s_cbranch_execnz .LBB2_83
.LBB2_32:
	s_or_b32 exec_lo, exec_lo, s0
	s_mov_b32 s2, exec_lo
	v_cmpx_gt_i32_e64 s9, v16
	s_cbranch_execnz .LBB2_108
	s_branch .LBB2_133
.LBB2_33:
	v_mul_lo_u32 v6, s15, v10
	v_mul_lo_u32 v7, s14, v11
	v_mad_u64_u32 v[4:5], null, s14, v10, 0
	s_mov_b32 s2, exec_lo
	v_add3_u32 v5, v5, v7, v6
	v_lshlrev_b64 v[6:7], 1, v[10:11]
	v_lshlrev_b64 v[4:5], 1, v[4:5]
	v_add_co_u32 v20, vcc_lo, s12, v6
	v_add_co_ci_u32_e64 v21, null, s13, v7, vcc_lo
	v_add_co_u32 v12, vcc_lo, v9, v4
	v_add_co_ci_u32_e64 v13, null, v19, v5, vcc_lo
	v_cmpx_gt_i32_e64 s10, v8
	s_cbranch_execz .LBB2_39
; %bb.34:
	s_and_b32 vcc_lo, exec_lo, s1
	s_cbranch_vccz .LBB2_36
; %bb.35:
	global_load_ushort v4, v[12:13], off
	s_waitcnt vmcnt(0)
	v_and_b32_e32 v4, 0x7fff, v4
	v_cmp_ne_u16_e32 vcc_lo, 0, v4
	v_mov_b32_e32 v7, v3
	v_mov_b32_e32 v4, v0
	;; [unrolled: 1-line block ×4, first 2 shown]
	v_add_co_ci_u32_e64 v22, null, 0, v0, vcc_lo
	v_mov_b32_e32 v4, v22
	s_cbranch_execz .LBB2_37
	s_branch .LBB2_38
.LBB2_36:
                                        ; implicit-def: $vgpr4_vgpr5_vgpr6_vgpr7
.LBB2_37:
	v_mad_u64_u32 v[4:5], null, s14, v8, 0
	v_mad_u64_u32 v[5:6], null, s15, v8, v[5:6]
	v_lshlrev_b64 v[4:5], 1, v[4:5]
	v_add_co_u32 v4, vcc_lo, v20, v4
	v_add_co_ci_u32_e64 v5, null, v21, v5, vcc_lo
	global_load_ushort v4, v[4:5], off
	s_waitcnt vmcnt(0)
	v_and_b32_e32 v4, 0x7fff, v4
	v_cmp_ne_u16_e32 vcc_lo, 0, v4
	v_add_co_ci_u32_e64 v0, null, 0, v0, vcc_lo
	v_mov_b32_e32 v7, v3
	v_mov_b32_e32 v6, v2
	;; [unrolled: 1-line block ×4, first 2 shown]
.LBB2_38:
	v_mov_b32_e32 v0, v4
	v_mov_b32_e32 v1, v5
	;; [unrolled: 1-line block ×4, first 2 shown]
.LBB2_39:
	s_or_b32 exec_lo, exec_lo, s2
	v_or_b32_e32 v22, 1, v8
	s_mov_b32 s2, exec_lo
	v_cmpx_gt_i32_e64 s10, v22
	s_cbranch_execz .LBB2_45
; %bb.40:
	s_andn2_b32 vcc_lo, exec_lo, s1
	s_cbranch_vccnz .LBB2_42
; %bb.41:
	global_load_ushort v4, v[12:13], off offset:2
	s_waitcnt vmcnt(0)
	v_and_b32_e32 v4, 0x7fff, v4
	v_cmp_ne_u16_e32 vcc_lo, 0, v4
	v_mov_b32_e32 v7, v3
	v_mov_b32_e32 v4, v0
	v_mov_b32_e32 v6, v2
	v_mov_b32_e32 v5, v1
	v_add_co_ci_u32_e64 v23, null, 0, v0, vcc_lo
	v_mov_b32_e32 v4, v23
	s_cbranch_execz .LBB2_43
	s_branch .LBB2_44
.LBB2_42:
                                        ; implicit-def: $vgpr4_vgpr5_vgpr6_vgpr7
.LBB2_43:
	v_mad_u64_u32 v[4:5], null, s14, v22, 0
	v_mad_u64_u32 v[5:6], null, s15, v22, v[5:6]
	v_lshlrev_b64 v[4:5], 1, v[4:5]
	v_add_co_u32 v4, vcc_lo, v20, v4
	v_add_co_ci_u32_e64 v5, null, v21, v5, vcc_lo
	global_load_ushort v4, v[4:5], off
	s_waitcnt vmcnt(0)
	v_and_b32_e32 v4, 0x7fff, v4
	v_cmp_ne_u16_e32 vcc_lo, 0, v4
	v_add_co_ci_u32_e64 v0, null, 0, v0, vcc_lo
	v_mov_b32_e32 v7, v3
	v_mov_b32_e32 v6, v2
	v_mov_b32_e32 v5, v1
	v_mov_b32_e32 v4, v0
.LBB2_44:
	v_mov_b32_e32 v0, v4
	v_mov_b32_e32 v1, v5
	v_mov_b32_e32 v2, v6
	v_mov_b32_e32 v3, v7
.LBB2_45:
	s_or_b32 exec_lo, exec_lo, s2
	v_or_b32_e32 v22, 2, v8
	s_mov_b32 s2, exec_lo
	v_cmpx_gt_i32_e64 s10, v22
	s_cbranch_execz .LBB2_51
; %bb.46:
	s_andn2_b32 vcc_lo, exec_lo, s1
	s_cbranch_vccnz .LBB2_48
; %bb.47:
	global_load_ushort v4, v[12:13], off offset:4
	s_waitcnt vmcnt(0)
	v_and_b32_e32 v4, 0x7fff, v4
	v_cmp_ne_u16_e32 vcc_lo, 0, v4
	v_mov_b32_e32 v7, v3
	v_mov_b32_e32 v4, v0
	v_mov_b32_e32 v6, v2
	v_mov_b32_e32 v5, v1
	v_add_co_ci_u32_e64 v23, null, 0, v0, vcc_lo
	v_mov_b32_e32 v4, v23
	s_cbranch_execz .LBB2_49
	s_branch .LBB2_50
.LBB2_48:
                                        ; implicit-def: $vgpr4_vgpr5_vgpr6_vgpr7
.LBB2_49:
	v_mad_u64_u32 v[4:5], null, s14, v22, 0
	v_mad_u64_u32 v[5:6], null, s15, v22, v[5:6]
	v_lshlrev_b64 v[4:5], 1, v[4:5]
	v_add_co_u32 v4, vcc_lo, v20, v4
	v_add_co_ci_u32_e64 v5, null, v21, v5, vcc_lo
	global_load_ushort v4, v[4:5], off
	s_waitcnt vmcnt(0)
	v_and_b32_e32 v4, 0x7fff, v4
	v_cmp_ne_u16_e32 vcc_lo, 0, v4
	v_add_co_ci_u32_e64 v0, null, 0, v0, vcc_lo
	v_mov_b32_e32 v7, v3
	v_mov_b32_e32 v6, v2
	v_mov_b32_e32 v5, v1
	v_mov_b32_e32 v4, v0
.LBB2_50:
	v_mov_b32_e32 v0, v4
	v_mov_b32_e32 v1, v5
	v_mov_b32_e32 v2, v6
	v_mov_b32_e32 v3, v7
.LBB2_51:
	;; [unrolled: 44-line block ×3, first 2 shown]
	s_or_b32 exec_lo, exec_lo, s2
	s_or_b32 exec_lo, exec_lo, s0
	s_mov_b32 s0, exec_lo
	v_cmpx_gt_i32_e64 s9, v18
	s_cbranch_execz .LBB2_31
.LBB2_58:
	v_ashrrev_i32_e32 v6, 31, v18
	v_mul_lo_u32 v7, s15, v18
	v_mad_u64_u32 v[4:5], null, s14, v18, 0
	s_mov_b32 s2, exec_lo
	v_mul_lo_u32 v6, s14, v6
	v_add3_u32 v5, v5, v6, v7
	v_lshlrev_b64 v[6:7], 1, v[10:11]
	v_lshlrev_b64 v[4:5], 1, v[4:5]
	v_add_co_u32 v18, vcc_lo, s12, v6
	v_add_co_ci_u32_e64 v20, null, s13, v7, vcc_lo
	v_add_co_u32 v12, vcc_lo, v9, v4
	v_add_co_ci_u32_e64 v13, null, v19, v5, vcc_lo
	v_cmpx_gt_i32_e64 s10, v8
	s_cbranch_execz .LBB2_64
; %bb.59:
	s_andn2_b32 vcc_lo, exec_lo, s1
	s_cbranch_vccnz .LBB2_61
; %bb.60:
	global_load_ushort v4, v[12:13], off
	s_waitcnt vmcnt(0)
	v_and_b32_e32 v4, 0x7fff, v4
	v_cmp_ne_u16_e32 vcc_lo, 0, v4
	v_mov_b32_e32 v7, v3
	v_mov_b32_e32 v5, v1
	;; [unrolled: 1-line block ×4, first 2 shown]
	v_add_co_ci_u32_e64 v21, null, 0, v1, vcc_lo
	v_mov_b32_e32 v5, v21
	s_cbranch_execz .LBB2_62
	s_branch .LBB2_63
.LBB2_61:
                                        ; implicit-def: $vgpr4_vgpr5_vgpr6_vgpr7
.LBB2_62:
	v_mad_u64_u32 v[4:5], null, s14, v8, 0
	v_mad_u64_u32 v[5:6], null, s15, v8, v[5:6]
	v_lshlrev_b64 v[4:5], 1, v[4:5]
	v_add_co_u32 v4, vcc_lo, v18, v4
	v_add_co_ci_u32_e64 v5, null, v20, v5, vcc_lo
	global_load_ushort v4, v[4:5], off offset:128
	s_waitcnt vmcnt(0)
	v_and_b32_e32 v4, 0x7fff, v4
	v_cmp_ne_u16_e32 vcc_lo, 0, v4
	v_add_co_ci_u32_e64 v1, null, 0, v1, vcc_lo
	v_mov_b32_e32 v7, v3
	v_mov_b32_e32 v6, v2
	;; [unrolled: 1-line block ×4, first 2 shown]
.LBB2_63:
	v_mov_b32_e32 v0, v4
	v_mov_b32_e32 v1, v5
	;; [unrolled: 1-line block ×4, first 2 shown]
.LBB2_64:
	s_or_b32 exec_lo, exec_lo, s2
	v_or_b32_e32 v21, 1, v8
	s_mov_b32 s2, exec_lo
	v_cmpx_gt_i32_e64 s10, v21
	s_cbranch_execz .LBB2_70
; %bb.65:
	s_andn2_b32 vcc_lo, exec_lo, s1
	s_cbranch_vccnz .LBB2_67
; %bb.66:
	global_load_ushort v4, v[12:13], off offset:2
	s_waitcnt vmcnt(0)
	v_and_b32_e32 v4, 0x7fff, v4
	v_cmp_ne_u16_e32 vcc_lo, 0, v4
	v_mov_b32_e32 v7, v3
	v_mov_b32_e32 v5, v1
	v_mov_b32_e32 v6, v2
	v_mov_b32_e32 v4, v0
	v_add_co_ci_u32_e64 v22, null, 0, v1, vcc_lo
	v_mov_b32_e32 v5, v22
	s_cbranch_execz .LBB2_68
	s_branch .LBB2_69
.LBB2_67:
                                        ; implicit-def: $vgpr4_vgpr5_vgpr6_vgpr7
.LBB2_68:
	v_mad_u64_u32 v[4:5], null, s14, v21, 0
	v_mad_u64_u32 v[5:6], null, s15, v21, v[5:6]
	v_lshlrev_b64 v[4:5], 1, v[4:5]
	v_add_co_u32 v4, vcc_lo, v18, v4
	v_add_co_ci_u32_e64 v5, null, v20, v5, vcc_lo
	global_load_ushort v4, v[4:5], off offset:128
	s_waitcnt vmcnt(0)
	v_and_b32_e32 v4, 0x7fff, v4
	v_cmp_ne_u16_e32 vcc_lo, 0, v4
	v_add_co_ci_u32_e64 v1, null, 0, v1, vcc_lo
	v_mov_b32_e32 v7, v3
	v_mov_b32_e32 v6, v2
	v_mov_b32_e32 v4, v0
	v_mov_b32_e32 v5, v1
.LBB2_69:
	v_mov_b32_e32 v0, v4
	v_mov_b32_e32 v1, v5
	v_mov_b32_e32 v2, v6
	v_mov_b32_e32 v3, v7
.LBB2_70:
	s_or_b32 exec_lo, exec_lo, s2
	v_or_b32_e32 v21, 2, v8
	s_mov_b32 s2, exec_lo
	v_cmpx_gt_i32_e64 s10, v21
	s_cbranch_execz .LBB2_76
; %bb.71:
	s_andn2_b32 vcc_lo, exec_lo, s1
	s_cbranch_vccnz .LBB2_73
; %bb.72:
	global_load_ushort v4, v[12:13], off offset:4
	s_waitcnt vmcnt(0)
	v_and_b32_e32 v4, 0x7fff, v4
	v_cmp_ne_u16_e32 vcc_lo, 0, v4
	v_mov_b32_e32 v7, v3
	v_mov_b32_e32 v5, v1
	v_mov_b32_e32 v6, v2
	v_mov_b32_e32 v4, v0
	v_add_co_ci_u32_e64 v22, null, 0, v1, vcc_lo
	v_mov_b32_e32 v5, v22
	s_cbranch_execz .LBB2_74
	s_branch .LBB2_75
.LBB2_73:
                                        ; implicit-def: $vgpr4_vgpr5_vgpr6_vgpr7
.LBB2_74:
	v_mad_u64_u32 v[4:5], null, s14, v21, 0
	v_mad_u64_u32 v[5:6], null, s15, v21, v[5:6]
	v_lshlrev_b64 v[4:5], 1, v[4:5]
	v_add_co_u32 v4, vcc_lo, v18, v4
	v_add_co_ci_u32_e64 v5, null, v20, v5, vcc_lo
	global_load_ushort v4, v[4:5], off offset:128
	s_waitcnt vmcnt(0)
	v_and_b32_e32 v4, 0x7fff, v4
	v_cmp_ne_u16_e32 vcc_lo, 0, v4
	v_add_co_ci_u32_e64 v1, null, 0, v1, vcc_lo
	v_mov_b32_e32 v7, v3
	v_mov_b32_e32 v6, v2
	v_mov_b32_e32 v4, v0
	v_mov_b32_e32 v5, v1
.LBB2_75:
	v_mov_b32_e32 v0, v4
	v_mov_b32_e32 v1, v5
	v_mov_b32_e32 v2, v6
	v_mov_b32_e32 v3, v7
.LBB2_76:
	;; [unrolled: 44-line block ×3, first 2 shown]
	s_or_b32 exec_lo, exec_lo, s2
	s_or_b32 exec_lo, exec_lo, s0
	s_mov_b32 s0, exec_lo
	v_cmpx_gt_i32_e64 s9, v17
	s_cbranch_execz .LBB2_32
.LBB2_83:
	v_ashrrev_i32_e32 v6, 31, v17
	v_mul_lo_u32 v7, s15, v17
	v_mad_u64_u32 v[4:5], null, s14, v17, 0
	s_mov_b32 s2, exec_lo
	v_mul_lo_u32 v6, s14, v6
	v_add3_u32 v5, v5, v6, v7
	v_lshlrev_b64 v[6:7], 1, v[10:11]
	v_lshlrev_b64 v[4:5], 1, v[4:5]
	v_add_co_u32 v17, vcc_lo, s12, v6
	v_add_co_ci_u32_e64 v18, null, s13, v7, vcc_lo
	v_add_co_u32 v12, vcc_lo, v9, v4
	v_add_co_ci_u32_e64 v13, null, v19, v5, vcc_lo
	v_cmpx_gt_i32_e64 s10, v8
	s_cbranch_execz .LBB2_89
; %bb.84:
	s_andn2_b32 vcc_lo, exec_lo, s1
	s_cbranch_vccnz .LBB2_86
; %bb.85:
	global_load_ushort v4, v[12:13], off
	s_waitcnt vmcnt(0)
	v_and_b32_e32 v4, 0x7fff, v4
	v_cmp_ne_u16_e32 vcc_lo, 0, v4
	v_mov_b32_e32 v7, v3
	v_mov_b32_e32 v6, v2
	;; [unrolled: 1-line block ×4, first 2 shown]
	v_add_co_ci_u32_e64 v20, null, 0, v2, vcc_lo
	v_mov_b32_e32 v6, v20
	s_cbranch_execz .LBB2_87
	s_branch .LBB2_88
.LBB2_86:
                                        ; implicit-def: $vgpr4_vgpr5_vgpr6_vgpr7
.LBB2_87:
	v_mad_u64_u32 v[4:5], null, s14, v8, 0
	v_mad_u64_u32 v[5:6], null, s15, v8, v[5:6]
	v_lshlrev_b64 v[4:5], 1, v[4:5]
	v_add_co_u32 v4, vcc_lo, v17, v4
	v_add_co_ci_u32_e64 v5, null, v18, v5, vcc_lo
	global_load_ushort v4, v[4:5], off offset:256
	s_waitcnt vmcnt(0)
	v_and_b32_e32 v4, 0x7fff, v4
	v_cmp_ne_u16_e32 vcc_lo, 0, v4
	v_add_co_ci_u32_e64 v2, null, 0, v2, vcc_lo
	v_mov_b32_e32 v7, v3
	v_mov_b32_e32 v5, v1
	;; [unrolled: 1-line block ×4, first 2 shown]
.LBB2_88:
	v_mov_b32_e32 v0, v4
	v_mov_b32_e32 v1, v5
	;; [unrolled: 1-line block ×4, first 2 shown]
.LBB2_89:
	s_or_b32 exec_lo, exec_lo, s2
	v_or_b32_e32 v20, 1, v8
	s_mov_b32 s2, exec_lo
	v_cmpx_gt_i32_e64 s10, v20
	s_cbranch_execz .LBB2_95
; %bb.90:
	s_andn2_b32 vcc_lo, exec_lo, s1
	s_cbranch_vccnz .LBB2_92
; %bb.91:
	global_load_ushort v4, v[12:13], off offset:2
	s_waitcnt vmcnt(0)
	v_and_b32_e32 v4, 0x7fff, v4
	v_cmp_ne_u16_e32 vcc_lo, 0, v4
	v_mov_b32_e32 v7, v3
	v_mov_b32_e32 v6, v2
	v_mov_b32_e32 v5, v1
	v_mov_b32_e32 v4, v0
	v_add_co_ci_u32_e64 v21, null, 0, v2, vcc_lo
	v_mov_b32_e32 v6, v21
	s_cbranch_execz .LBB2_93
	s_branch .LBB2_94
.LBB2_92:
                                        ; implicit-def: $vgpr4_vgpr5_vgpr6_vgpr7
.LBB2_93:
	v_mad_u64_u32 v[4:5], null, s14, v20, 0
	v_mad_u64_u32 v[5:6], null, s15, v20, v[5:6]
	v_lshlrev_b64 v[4:5], 1, v[4:5]
	v_add_co_u32 v4, vcc_lo, v17, v4
	v_add_co_ci_u32_e64 v5, null, v18, v5, vcc_lo
	global_load_ushort v4, v[4:5], off offset:256
	s_waitcnt vmcnt(0)
	v_and_b32_e32 v4, 0x7fff, v4
	v_cmp_ne_u16_e32 vcc_lo, 0, v4
	v_add_co_ci_u32_e64 v2, null, 0, v2, vcc_lo
	v_mov_b32_e32 v7, v3
	v_mov_b32_e32 v5, v1
	v_mov_b32_e32 v4, v0
	v_mov_b32_e32 v6, v2
.LBB2_94:
	v_mov_b32_e32 v0, v4
	v_mov_b32_e32 v1, v5
	v_mov_b32_e32 v2, v6
	v_mov_b32_e32 v3, v7
.LBB2_95:
	s_or_b32 exec_lo, exec_lo, s2
	v_or_b32_e32 v20, 2, v8
	s_mov_b32 s2, exec_lo
	v_cmpx_gt_i32_e64 s10, v20
	s_cbranch_execz .LBB2_101
; %bb.96:
	s_andn2_b32 vcc_lo, exec_lo, s1
	s_cbranch_vccnz .LBB2_98
; %bb.97:
	global_load_ushort v4, v[12:13], off offset:4
	s_waitcnt vmcnt(0)
	v_and_b32_e32 v4, 0x7fff, v4
	v_cmp_ne_u16_e32 vcc_lo, 0, v4
	v_mov_b32_e32 v7, v3
	v_mov_b32_e32 v6, v2
	v_mov_b32_e32 v5, v1
	v_mov_b32_e32 v4, v0
	v_add_co_ci_u32_e64 v21, null, 0, v2, vcc_lo
	v_mov_b32_e32 v6, v21
	s_cbranch_execz .LBB2_99
	s_branch .LBB2_100
.LBB2_98:
                                        ; implicit-def: $vgpr4_vgpr5_vgpr6_vgpr7
.LBB2_99:
	v_mad_u64_u32 v[4:5], null, s14, v20, 0
	v_mad_u64_u32 v[5:6], null, s15, v20, v[5:6]
	v_lshlrev_b64 v[4:5], 1, v[4:5]
	v_add_co_u32 v4, vcc_lo, v17, v4
	v_add_co_ci_u32_e64 v5, null, v18, v5, vcc_lo
	global_load_ushort v4, v[4:5], off offset:256
	s_waitcnt vmcnt(0)
	v_and_b32_e32 v4, 0x7fff, v4
	v_cmp_ne_u16_e32 vcc_lo, 0, v4
	v_add_co_ci_u32_e64 v2, null, 0, v2, vcc_lo
	v_mov_b32_e32 v7, v3
	v_mov_b32_e32 v5, v1
	v_mov_b32_e32 v4, v0
	v_mov_b32_e32 v6, v2
.LBB2_100:
	v_mov_b32_e32 v0, v4
	v_mov_b32_e32 v1, v5
	v_mov_b32_e32 v2, v6
	v_mov_b32_e32 v3, v7
.LBB2_101:
	;; [unrolled: 44-line block ×3, first 2 shown]
	s_or_b32 exec_lo, exec_lo, s2
	s_or_b32 exec_lo, exec_lo, s0
	s_mov_b32 s2, exec_lo
	v_cmpx_gt_i32_e64 s9, v16
	s_cbranch_execz .LBB2_133
.LBB2_108:
	v_ashrrev_i32_e32 v6, 31, v16
	v_mul_lo_u32 v7, s15, v16
	v_mad_u64_u32 v[4:5], null, s14, v16, 0
	v_cndmask_b32_e64 v13, 0, 1, s1
	v_mul_lo_u32 v6, s14, v6
	v_add3_u32 v5, v5, v6, v7
	v_lshlrev_b64 v[6:7], 1, v[10:11]
	v_lshlrev_b64 v[4:5], 1, v[4:5]
	v_add_co_u32 v11, s0, s12, v6
	v_add_co_ci_u32_e64 v12, null, s13, v7, s0
	v_add_co_u32 v9, s0, v9, v4
	v_add_co_ci_u32_e64 v10, null, v19, v5, s0
	s_mov_b32 s0, exec_lo
	v_cmpx_gt_i32_e64 s10, v8
	s_cbranch_execz .LBB2_114
; %bb.109:
	s_andn2_b32 vcc_lo, exec_lo, s1
	s_cbranch_vccnz .LBB2_111
; %bb.110:
	global_load_ushort v4, v[9:10], off
	s_waitcnt vmcnt(0)
	v_and_b32_e32 v4, 0x7fff, v4
	v_cmp_ne_u16_e32 vcc_lo, 0, v4
	v_mov_b32_e32 v7, v3
	v_mov_b32_e32 v6, v2
	;; [unrolled: 1-line block ×4, first 2 shown]
	v_add_co_ci_u32_e64 v16, null, 0, v3, vcc_lo
	v_mov_b32_e32 v7, v16
	s_cbranch_execz .LBB2_112
	s_branch .LBB2_113
.LBB2_111:
                                        ; implicit-def: $vgpr4_vgpr5_vgpr6_vgpr7
.LBB2_112:
	v_mad_u64_u32 v[4:5], null, s14, v8, 0
	v_mad_u64_u32 v[5:6], null, s15, v8, v[5:6]
	v_lshlrev_b64 v[4:5], 1, v[4:5]
	v_add_co_u32 v4, vcc_lo, v11, v4
	v_add_co_ci_u32_e64 v5, null, v12, v5, vcc_lo
	global_load_ushort v4, v[4:5], off offset:384
	s_waitcnt vmcnt(0)
	v_and_b32_e32 v4, 0x7fff, v4
	v_cmp_ne_u16_e32 vcc_lo, 0, v4
	v_add_co_ci_u32_e64 v3, null, 0, v3, vcc_lo
	v_mov_b32_e32 v7, v3
	v_mov_b32_e32 v6, v2
	;; [unrolled: 1-line block ×4, first 2 shown]
.LBB2_113:
	v_mov_b32_e32 v0, v4
	v_mov_b32_e32 v1, v5
	v_mov_b32_e32 v2, v6
	v_mov_b32_e32 v3, v7
.LBB2_114:
	s_or_b32 exec_lo, exec_lo, s0
	v_or_b32_e32 v16, 1, v8
	s_mov_b32 s0, exec_lo
	v_cmpx_gt_i32_e64 s10, v16
	s_cbranch_execz .LBB2_120
; %bb.115:
	v_cmp_ne_u32_e32 vcc_lo, 1, v13
	s_cbranch_vccnz .LBB2_117
; %bb.116:
	global_load_ushort v4, v[9:10], off offset:2
	s_waitcnt vmcnt(0)
	v_and_b32_e32 v4, 0x7fff, v4
	v_cmp_ne_u16_e32 vcc_lo, 0, v4
	v_mov_b32_e32 v7, v3
	v_mov_b32_e32 v6, v2
	v_mov_b32_e32 v5, v1
	v_mov_b32_e32 v4, v0
	v_add_co_ci_u32_e64 v17, null, 0, v3, vcc_lo
	v_mov_b32_e32 v7, v17
	s_cbranch_execz .LBB2_118
	s_branch .LBB2_119
.LBB2_117:
                                        ; implicit-def: $vgpr4_vgpr5_vgpr6_vgpr7
.LBB2_118:
	v_mad_u64_u32 v[4:5], null, s14, v16, 0
	v_mad_u64_u32 v[5:6], null, s15, v16, v[5:6]
	v_lshlrev_b64 v[4:5], 1, v[4:5]
	v_add_co_u32 v4, vcc_lo, v11, v4
	v_add_co_ci_u32_e64 v5, null, v12, v5, vcc_lo
	global_load_ushort v4, v[4:5], off offset:384
	s_waitcnt vmcnt(0)
	v_and_b32_e32 v4, 0x7fff, v4
	v_cmp_ne_u16_e32 vcc_lo, 0, v4
	v_add_co_ci_u32_e64 v3, null, 0, v3, vcc_lo
	v_mov_b32_e32 v7, v3
	v_mov_b32_e32 v6, v2
	v_mov_b32_e32 v5, v1
	v_mov_b32_e32 v4, v0
.LBB2_119:
	v_mov_b32_e32 v0, v4
	v_mov_b32_e32 v1, v5
	v_mov_b32_e32 v2, v6
	v_mov_b32_e32 v3, v7
.LBB2_120:
	s_or_b32 exec_lo, exec_lo, s0
	v_or_b32_e32 v16, 2, v8
	s_mov_b32 s0, exec_lo
	v_cmpx_gt_i32_e64 s10, v16
	s_cbranch_execz .LBB2_126
; %bb.121:
	v_cmp_ne_u32_e32 vcc_lo, 1, v13
	s_cbranch_vccnz .LBB2_123
; %bb.122:
	global_load_ushort v4, v[9:10], off offset:4
	s_waitcnt vmcnt(0)
	v_and_b32_e32 v4, 0x7fff, v4
	v_cmp_ne_u16_e32 vcc_lo, 0, v4
	v_mov_b32_e32 v7, v3
	v_mov_b32_e32 v6, v2
	v_mov_b32_e32 v5, v1
	v_mov_b32_e32 v4, v0
	v_add_co_ci_u32_e64 v17, null, 0, v3, vcc_lo
	v_mov_b32_e32 v7, v17
	s_cbranch_execz .LBB2_124
	s_branch .LBB2_125
.LBB2_123:
                                        ; implicit-def: $vgpr4_vgpr5_vgpr6_vgpr7
.LBB2_124:
	v_mad_u64_u32 v[4:5], null, s14, v16, 0
	v_mad_u64_u32 v[5:6], null, s15, v16, v[5:6]
	v_lshlrev_b64 v[4:5], 1, v[4:5]
	v_add_co_u32 v4, vcc_lo, v11, v4
	v_add_co_ci_u32_e64 v5, null, v12, v5, vcc_lo
	global_load_ushort v4, v[4:5], off offset:384
	s_waitcnt vmcnt(0)
	v_and_b32_e32 v4, 0x7fff, v4
	v_cmp_ne_u16_e32 vcc_lo, 0, v4
	v_add_co_ci_u32_e64 v3, null, 0, v3, vcc_lo
	v_mov_b32_e32 v7, v3
	v_mov_b32_e32 v6, v2
	v_mov_b32_e32 v5, v1
	v_mov_b32_e32 v4, v0
.LBB2_125:
	v_mov_b32_e32 v0, v4
	v_mov_b32_e32 v1, v5
	v_mov_b32_e32 v2, v6
	v_mov_b32_e32 v3, v7
.LBB2_126:
	;; [unrolled: 44-line block ×3, first 2 shown]
	s_or_b32 exec_lo, exec_lo, s0
.LBB2_133:
	s_or_b32 exec_lo, exec_lo, s2
.LBB2_134:
	v_lshlrev_b32_e32 v4, 4, v14
	v_lshlrev_b32_e32 v5, 2, v15
	s_mov_b32 s0, exec_lo
	v_and_or_b32 v4, 0x7ffffc00, v4, v5
	ds_write2st64_b32 v4, v0, v1 offset1:1
	ds_write2st64_b32 v4, v2, v3 offset0:2 offset1:3
	s_waitcnt lgkmcnt(0)
	s_barrier
	buffer_gl0_inv
	v_cmpx_gt_u32_e32 0x100, v14
	s_cbranch_execz .LBB2_137
; %bb.135:
	v_lshlrev_b32_e32 v8, 2, v14
	ds_read2st64_b32 v[0:1], v8 offset1:4
	ds_read2st64_b32 v[2:3], v8 offset0:8 offset1:12
	ds_read2st64_b32 v[4:5], v8 offset0:16 offset1:20
	;; [unrolled: 1-line block ×3, first 2 shown]
	s_waitcnt lgkmcnt(3)
	v_add_nc_u32_e32 v9, v0, v1
	ds_read2st64_b32 v[0:1], v8 offset0:32 offset1:36
	s_waitcnt lgkmcnt(3)
	v_add3_u32 v9, v9, v2, v3
	ds_read2st64_b32 v[2:3], v8 offset0:40 offset1:44
	s_waitcnt lgkmcnt(3)
	v_add3_u32 v9, v9, v4, v5
	;; [unrolled: 3-line block ×4, first 2 shown]
	s_waitcnt lgkmcnt(2)
	v_add3_u32 v0, v0, v2, v3
	s_waitcnt lgkmcnt(1)
	v_add3_u32 v1, v0, v4, v5
	v_add_nc_u32_e32 v0, s5, v14
	s_waitcnt lgkmcnt(0)
	v_add3_u32 v2, v1, v6, v7
	v_cmp_gt_i32_e32 vcc_lo, s9, v0
	ds_write_b32 v8, v2
	s_and_b32 exec_lo, exec_lo, vcc_lo
	s_cbranch_execz .LBB2_137
; %bb.136:
	v_ashrrev_i32_e32 v1, 31, v0
	v_lshlrev_b64 v[0:1], 2, v[0:1]
	v_add_co_u32 v0, vcc_lo, s16, v0
	v_add_co_ci_u32_e64 v1, null, s17, v1, vcc_lo
	global_store_dword v[0:1], v2, off
.LBB2_137:
	s_endpgm
	.section	.rodata,"a",@progbits
	.p2align	6, 0x0
	.amdhsa_kernel _ZN9rocsparseL14nnz_kernel_rowILi64ELi16Eii18rocsparse_bfloat16EEv16rocsparse_order_T2_S3_PKT3_lPT1_
		.amdhsa_group_segment_fixed_size 16384
		.amdhsa_private_segment_fixed_size 0
		.amdhsa_kernarg_size 296
		.amdhsa_user_sgpr_count 6
		.amdhsa_user_sgpr_private_segment_buffer 1
		.amdhsa_user_sgpr_dispatch_ptr 0
		.amdhsa_user_sgpr_queue_ptr 0
		.amdhsa_user_sgpr_kernarg_segment_ptr 1
		.amdhsa_user_sgpr_dispatch_id 0
		.amdhsa_user_sgpr_flat_scratch_init 0
		.amdhsa_user_sgpr_private_segment_size 0
		.amdhsa_wavefront_size32 1
		.amdhsa_uses_dynamic_stack 0
		.amdhsa_system_sgpr_private_segment_wavefront_offset 0
		.amdhsa_system_sgpr_workgroup_id_x 1
		.amdhsa_system_sgpr_workgroup_id_y 0
		.amdhsa_system_sgpr_workgroup_id_z 0
		.amdhsa_system_sgpr_workgroup_info 0
		.amdhsa_system_vgpr_workitem_id 1
		.amdhsa_next_free_vgpr 34
		.amdhsa_next_free_sgpr 22
		.amdhsa_reserve_vcc 1
		.amdhsa_reserve_flat_scratch 0
		.amdhsa_float_round_mode_32 0
		.amdhsa_float_round_mode_16_64 0
		.amdhsa_float_denorm_mode_32 3
		.amdhsa_float_denorm_mode_16_64 3
		.amdhsa_dx10_clamp 1
		.amdhsa_ieee_mode 1
		.amdhsa_fp16_overflow 0
		.amdhsa_workgroup_processor_mode 1
		.amdhsa_memory_ordered 1
		.amdhsa_forward_progress 1
		.amdhsa_shared_vgpr_count 0
		.amdhsa_exception_fp_ieee_invalid_op 0
		.amdhsa_exception_fp_denorm_src 0
		.amdhsa_exception_fp_ieee_div_zero 0
		.amdhsa_exception_fp_ieee_overflow 0
		.amdhsa_exception_fp_ieee_underflow 0
		.amdhsa_exception_fp_ieee_inexact 0
		.amdhsa_exception_int_div_zero 0
	.end_amdhsa_kernel
	.section	.text._ZN9rocsparseL14nnz_kernel_rowILi64ELi16Eii18rocsparse_bfloat16EEv16rocsparse_order_T2_S3_PKT3_lPT1_,"axG",@progbits,_ZN9rocsparseL14nnz_kernel_rowILi64ELi16Eii18rocsparse_bfloat16EEv16rocsparse_order_T2_S3_PKT3_lPT1_,comdat
.Lfunc_end2:
	.size	_ZN9rocsparseL14nnz_kernel_rowILi64ELi16Eii18rocsparse_bfloat16EEv16rocsparse_order_T2_S3_PKT3_lPT1_, .Lfunc_end2-_ZN9rocsparseL14nnz_kernel_rowILi64ELi16Eii18rocsparse_bfloat16EEv16rocsparse_order_T2_S3_PKT3_lPT1_
                                        ; -- End function
	.set _ZN9rocsparseL14nnz_kernel_rowILi64ELi16Eii18rocsparse_bfloat16EEv16rocsparse_order_T2_S3_PKT3_lPT1_.num_vgpr, 34
	.set _ZN9rocsparseL14nnz_kernel_rowILi64ELi16Eii18rocsparse_bfloat16EEv16rocsparse_order_T2_S3_PKT3_lPT1_.num_agpr, 0
	.set _ZN9rocsparseL14nnz_kernel_rowILi64ELi16Eii18rocsparse_bfloat16EEv16rocsparse_order_T2_S3_PKT3_lPT1_.numbered_sgpr, 22
	.set _ZN9rocsparseL14nnz_kernel_rowILi64ELi16Eii18rocsparse_bfloat16EEv16rocsparse_order_T2_S3_PKT3_lPT1_.num_named_barrier, 0
	.set _ZN9rocsparseL14nnz_kernel_rowILi64ELi16Eii18rocsparse_bfloat16EEv16rocsparse_order_T2_S3_PKT3_lPT1_.private_seg_size, 0
	.set _ZN9rocsparseL14nnz_kernel_rowILi64ELi16Eii18rocsparse_bfloat16EEv16rocsparse_order_T2_S3_PKT3_lPT1_.uses_vcc, 1
	.set _ZN9rocsparseL14nnz_kernel_rowILi64ELi16Eii18rocsparse_bfloat16EEv16rocsparse_order_T2_S3_PKT3_lPT1_.uses_flat_scratch, 0
	.set _ZN9rocsparseL14nnz_kernel_rowILi64ELi16Eii18rocsparse_bfloat16EEv16rocsparse_order_T2_S3_PKT3_lPT1_.has_dyn_sized_stack, 0
	.set _ZN9rocsparseL14nnz_kernel_rowILi64ELi16Eii18rocsparse_bfloat16EEv16rocsparse_order_T2_S3_PKT3_lPT1_.has_recursion, 0
	.set _ZN9rocsparseL14nnz_kernel_rowILi64ELi16Eii18rocsparse_bfloat16EEv16rocsparse_order_T2_S3_PKT3_lPT1_.has_indirect_call, 0
	.section	.AMDGPU.csdata,"",@progbits
; Kernel info:
; codeLenInByte = 6352
; TotalNumSgprs: 24
; NumVgprs: 34
; ScratchSize: 0
; MemoryBound: 0
; FloatMode: 240
; IeeeMode: 1
; LDSByteSize: 16384 bytes/workgroup (compile time only)
; SGPRBlocks: 0
; VGPRBlocks: 4
; NumSGPRsForWavesPerEU: 24
; NumVGPRsForWavesPerEU: 34
; Occupancy: 16
; WaveLimiterHint : 0
; COMPUTE_PGM_RSRC2:SCRATCH_EN: 0
; COMPUTE_PGM_RSRC2:USER_SGPR: 6
; COMPUTE_PGM_RSRC2:TRAP_HANDLER: 0
; COMPUTE_PGM_RSRC2:TGID_X_EN: 1
; COMPUTE_PGM_RSRC2:TGID_Y_EN: 0
; COMPUTE_PGM_RSRC2:TGID_Z_EN: 0
; COMPUTE_PGM_RSRC2:TIDIG_COMP_CNT: 1
	.section	.text._ZN9rocsparseL14nnz_kernel_colILi256Eii18rocsparse_bfloat16EEv16rocsparse_order_T1_S3_PKT2_lPT0_,"axG",@progbits,_ZN9rocsparseL14nnz_kernel_colILi256Eii18rocsparse_bfloat16EEv16rocsparse_order_T1_S3_PKT2_lPT0_,comdat
	.globl	_ZN9rocsparseL14nnz_kernel_colILi256Eii18rocsparse_bfloat16EEv16rocsparse_order_T1_S3_PKT2_lPT0_ ; -- Begin function _ZN9rocsparseL14nnz_kernel_colILi256Eii18rocsparse_bfloat16EEv16rocsparse_order_T1_S3_PKT2_lPT0_
	.p2align	8
	.type	_ZN9rocsparseL14nnz_kernel_colILi256Eii18rocsparse_bfloat16EEv16rocsparse_order_T1_S3_PKT2_lPT0_,@function
_ZN9rocsparseL14nnz_kernel_colILi256Eii18rocsparse_bfloat16EEv16rocsparse_order_T1_S3_PKT2_lPT0_: ; @_ZN9rocsparseL14nnz_kernel_colILi256Eii18rocsparse_bfloat16EEv16rocsparse_order_T1_S3_PKT2_lPT0_
; %bb.0:
	s_clause 0x1
	s_load_dwordx2 s[8:9], s[4:5], 0x0
	s_load_dwordx4 s[0:3], s[4:5], 0x10
	s_waitcnt lgkmcnt(0)
	s_ashr_i32 s7, s9, 31
	s_lshr_b32 s7, s7, 24
	s_add_i32 s7, s9, s7
	s_and_b32 s10, s7, 0xffffff00
	s_cmp_eq_u32 s8, 1
	s_cbranch_scc1 .LBB3_6
; %bb.1:
	v_mov_b32_e32 v5, 0
	s_cmpk_lt_i32 s9, 0x100
	s_cbranch_scc1 .LBB3_7
; %bb.2:
	v_mad_u64_u32 v[1:2], null, s2, v0, 0
	s_ashr_i32 s7, s6, 31
	v_mov_b32_e32 v5, 0
	s_lshl_b64 s[12:13], s[6:7], 1
	s_add_u32 s7, s0, s12
	s_addc_u32 s8, s1, s13
	v_mad_u64_u32 v[2:3], null, s3, v0, v[2:3]
	s_lshl_b64 s[12:13], s[2:3], 9
	v_lshlrev_b64 v[1:2], 1, v[1:2]
	v_add_co_u32 v1, vcc_lo, s7, v1
	v_add_co_ci_u32_e64 v2, null, s8, v2, vcc_lo
	s_mov_b32 s7, 0
	s_branch .LBB3_4
	.p2align	6
.LBB3_3:                                ;   in Loop: Header=BB3_4 Depth=1
	s_or_b32 exec_lo, exec_lo, s8
	v_add_co_u32 v1, vcc_lo, v1, s12
	v_add_co_ci_u32_e64 v2, null, s13, v2, vcc_lo
	s_addk_i32 s7, 0x100
	s_cmp_ge_i32 s7, s10
	s_cbranch_scc1 .LBB3_7
.LBB3_4:                                ; =>This Inner Loop Header: Depth=1
	v_add_nc_u32_e32 v3, s7, v0
	s_mov_b32 s8, exec_lo
	v_cmpx_gt_i32_e64 s9, v3
	s_cbranch_execz .LBB3_3
; %bb.5:                                ;   in Loop: Header=BB3_4 Depth=1
	global_load_ushort v3, v[1:2], off
	s_waitcnt vmcnt(0)
	v_and_b32_e32 v3, 0x7fff, v3
	v_cmp_ne_u16_e32 vcc_lo, 0, v3
	v_add_co_ci_u32_e64 v5, null, 0, v5, vcc_lo
	s_branch .LBB3_3
.LBB3_6:
                                        ; implicit-def: $vgpr5
	s_load_dwordx2 s[4:5], s[4:5], 0x20
	s_cbranch_execnz .LBB3_10
	s_branch .LBB3_16
.LBB3_7:
	v_add_nc_u32_e32 v1, s10, v0
	s_mov_b32 s8, exec_lo
	v_cmpx_gt_i32_e64 s9, v1
	s_cbranch_execz .LBB3_9
; %bb.8:
	v_ashrrev_i32_e32 v3, 31, v1
	v_mul_lo_u32 v4, s3, v1
	v_mad_u64_u32 v[1:2], null, s2, v1, 0
	s_ashr_i32 s7, s6, 31
	v_mul_lo_u32 v3, s2, v3
	s_lshl_b64 s[12:13], s[6:7], 1
	v_add3_u32 v2, v2, v3, v4
	v_lshlrev_b64 v[1:2], 1, v[1:2]
	v_add_co_u32 v1, vcc_lo, s0, v1
	v_add_co_ci_u32_e64 v2, null, s1, v2, vcc_lo
	v_add_co_u32 v1, vcc_lo, v1, s12
	v_add_co_ci_u32_e64 v2, null, s13, v2, vcc_lo
	global_load_ushort v1, v[1:2], off
	s_waitcnt vmcnt(0)
	v_and_b32_e32 v1, 0x7fff, v1
	v_cmp_ne_u16_e32 vcc_lo, 0, v1
	v_add_co_ci_u32_e64 v5, null, 0, v5, vcc_lo
.LBB3_9:
	s_or_b32 exec_lo, exec_lo, s8
	s_load_dwordx2 s[4:5], s[4:5], 0x20
	s_branch .LBB3_16
.LBB3_10:
	v_cmp_gt_i32_e32 vcc_lo, s9, v0
	s_ashr_i32 s7, s6, 31
	s_mul_hi_u32 s8, s2, s6
	s_mul_i32 s7, s2, s7
	s_mul_i32 s3, s3, s6
	v_cndmask_b32_e32 v1, 0, v0, vcc_lo
	s_add_i32 s7, s8, s7
	s_mul_i32 s2, s2, s6
	s_add_i32 s3, s7, s3
	v_mov_b32_e32 v5, 0
	v_lshlrev_b32_e32 v1, 1, v1
	s_lshl_b64 s[2:3], s[2:3], 1
	s_add_u32 s0, s0, s2
	s_addc_u32 s1, s1, s3
	v_add_co_u32 v1, s0, s0, v1
	v_add_co_ci_u32_e64 v2, null, s1, 0, s0
	s_cmpk_lt_i32 s9, 0x100
	s_cbranch_scc1 .LBB3_13
; %bb.11:
	v_mov_b32_e32 v4, v2
	v_mov_b32_e32 v5, 0
	;; [unrolled: 1-line block ×3, first 2 shown]
	s_mov_b32 s0, 0
.LBB3_12:                               ; =>This Inner Loop Header: Depth=1
	global_load_ushort v6, v[3:4], off
	v_add_co_u32 v3, vcc_lo, 0x200, v3
	v_add_co_ci_u32_e64 v4, null, 0, v4, vcc_lo
	s_addk_i32 s0, 0x100
	s_cmp_ge_i32 s0, s10
	s_waitcnt vmcnt(0)
	v_and_b32_e32 v6, 0x7fff, v6
	v_cmp_ne_u16_e32 vcc_lo, 0, v6
	v_add_co_ci_u32_e64 v5, null, 0, v5, vcc_lo
	s_cbranch_scc0 .LBB3_12
.LBB3_13:
	v_add_nc_u32_e32 v3, s10, v0
	s_mov_b32 s0, exec_lo
	v_cmpx_gt_i32_e64 s9, v3
	s_cbranch_execz .LBB3_15
; %bb.14:
	s_ashr_i32 s11, s10, 31
	s_lshl_b64 s[2:3], s[10:11], 1
	v_add_co_u32 v1, vcc_lo, v1, s2
	v_add_co_ci_u32_e64 v2, null, s3, v2, vcc_lo
	global_load_ushort v1, v[1:2], off
	s_waitcnt vmcnt(0)
	v_and_b32_e32 v1, 0x7fff, v1
	v_cmp_ne_u16_e32 vcc_lo, 0, v1
	v_add_co_ci_u32_e64 v5, null, 0, v5, vcc_lo
.LBB3_15:
	s_or_b32 exec_lo, exec_lo, s0
.LBB3_16:
	v_lshlrev_b32_e32 v1, 2, v0
	s_cmpk_lt_i32 s9, 0x100
	s_mov_b32 s0, -1
	v_cmp_eq_u32_e32 vcc_lo, 0, v0
	ds_write_b32 v1, v5
	s_waitcnt lgkmcnt(0)
	s_cbranch_scc0 .LBB3_27
; %bb.17:
	s_cmp_gt_i32 s9, 1
	s_mov_b32 s2, 1
	s_cselect_b32 s0, -1, 0
	s_barrier
	s_and_b32 s1, vcc_lo, s0
	buffer_gl0_inv
	s_and_saveexec_b32 s0, s1
	s_cbranch_execz .LBB3_26
; %bb.18:
	v_mov_b32_e32 v2, 0
	s_add_i32 s3, s9, -2
	s_add_i32 s1, s9, -1
	s_cmp_lt_u32 s3, 7
	ds_read_b32 v2, v2
	s_cbranch_scc1 .LBB3_22
; %bb.19:
	s_and_b32 s2, s1, -8
	s_mov_b32 s7, 0
	s_mov_b32 s3, 4
	.p2align	6
.LBB3_20:                               ; =>This Inner Loop Header: Depth=1
	v_mov_b32_e32 v9, s3
	s_mov_b32 s8, s7
	s_add_i32 s7, s7, 8
	s_add_i32 s3, s3, 32
	s_cmp_lg_u32 s2, s7
	ds_read2_b32 v[3:4], v9 offset1:1
	ds_read2_b32 v[5:6], v9 offset0:2 offset1:3
	ds_read2_b32 v[7:8], v9 offset0:4 offset1:5
	;; [unrolled: 1-line block ×3, first 2 shown]
	s_waitcnt lgkmcnt(3)
	v_add_nc_u32_e32 v2, v2, v3
	v_add_nc_u32_e32 v2, v2, v4
	s_waitcnt lgkmcnt(2)
	v_add_nc_u32_e32 v2, v2, v5
	v_add_nc_u32_e32 v2, v2, v6
	;; [unrolled: 3-line block ×4, first 2 shown]
	s_cbranch_scc1 .LBB3_20
; %bb.21:
	s_add_i32 s2, s8, 9
.LBB3_22:
	s_and_b32 s1, s1, 7
	s_cmp_eq_u32 s1, 0
	s_cbranch_scc1 .LBB3_25
; %bb.23:
	s_lshl_b32 s2, s2, 2
.LBB3_24:                               ; =>This Inner Loop Header: Depth=1
	v_mov_b32_e32 v3, s2
	s_add_i32 s1, s1, -1
	s_add_i32 s2, s2, 4
	s_cmp_lg_u32 s1, 0
	ds_read_b32 v3, v3
	s_waitcnt lgkmcnt(0)
	v_add_nc_u32_e32 v2, v2, v3
	s_cbranch_scc1 .LBB3_24
.LBB3_25:
	v_mov_b32_e32 v3, 0
	s_waitcnt lgkmcnt(0)
	ds_write_b32 v3, v2
.LBB3_26:
	s_or_b32 exec_lo, exec_lo, s0
	s_mov_b32 s0, 0
	s_waitcnt lgkmcnt(0)
	s_barrier
.LBB3_27:
	s_and_b32 vcc_lo, exec_lo, s0
	s_cbranch_vccz .LBB3_45
; %bb.28:
	s_mov_b32 s0, exec_lo
	s_barrier
	buffer_gl0_inv
	v_cmpx_gt_u32_e32 0x80, v0
	s_cbranch_execz .LBB3_30
; %bb.29:
	ds_read2st64_b32 v[2:3], v1 offset1:2
	s_waitcnt lgkmcnt(0)
	v_add_nc_u32_e32 v2, v2, v3
	ds_write_b32 v1, v2
.LBB3_30:
	s_or_b32 exec_lo, exec_lo, s0
	s_mov_b32 s0, exec_lo
	s_waitcnt lgkmcnt(0)
	s_barrier
	buffer_gl0_inv
	v_cmpx_gt_u32_e32 64, v0
	s_cbranch_execz .LBB3_32
; %bb.31:
	ds_read2st64_b32 v[2:3], v1 offset1:1
	s_waitcnt lgkmcnt(0)
	v_add_nc_u32_e32 v2, v2, v3
	ds_write_b32 v1, v2
.LBB3_32:
	s_or_b32 exec_lo, exec_lo, s0
	s_mov_b32 s0, exec_lo
	s_waitcnt lgkmcnt(0)
	s_barrier
	buffer_gl0_inv
	v_cmpx_gt_u32_e32 32, v0
	s_cbranch_execz .LBB3_34
; %bb.33:
	ds_read2_b32 v[2:3], v1 offset1:32
	s_waitcnt lgkmcnt(0)
	v_add_nc_u32_e32 v2, v2, v3
	ds_write_b32 v1, v2
.LBB3_34:
	s_or_b32 exec_lo, exec_lo, s0
	s_mov_b32 s0, exec_lo
	s_waitcnt lgkmcnt(0)
	s_barrier
	buffer_gl0_inv
	v_cmpx_gt_u32_e32 16, v0
	s_cbranch_execz .LBB3_36
; %bb.35:
	ds_read2_b32 v[2:3], v1 offset1:16
	s_waitcnt lgkmcnt(0)
	v_add_nc_u32_e32 v2, v2, v3
	ds_write_b32 v1, v2
.LBB3_36:
	;; [unrolled: 13-line block ×5, first 2 shown]
	s_or_b32 exec_lo, exec_lo, s0
	s_mov_b32 s0, exec_lo
	s_waitcnt lgkmcnt(0)
	s_barrier
	buffer_gl0_inv
	v_cmpx_eq_u32_e32 0, v0
	s_cbranch_execz .LBB3_44
; %bb.43:
	v_mov_b32_e32 v3, 0
	ds_read_b64 v[1:2], v3
	s_waitcnt lgkmcnt(0)
	v_add_nc_u32_e32 v1, v1, v2
	ds_write_b32 v3, v1
.LBB3_44:
	s_or_b32 exec_lo, exec_lo, s0
	s_waitcnt lgkmcnt(0)
	s_barrier
.LBB3_45:
	buffer_gl0_inv
	s_mov_b32 s0, exec_lo
	v_cmpx_eq_u32_e32 0, v0
	s_cbranch_execz .LBB3_47
; %bb.46:
	v_mov_b32_e32 v0, 0
	s_ashr_i32 s7, s6, 31
	s_lshl_b64 s[0:1], s[6:7], 2
	s_add_u32 s0, s4, s0
	ds_read_b32 v1, v0
	s_addc_u32 s1, s5, s1
	s_waitcnt lgkmcnt(0)
	global_store_dword v0, v1, s[0:1]
.LBB3_47:
	s_endpgm
	.section	.rodata,"a",@progbits
	.p2align	6, 0x0
	.amdhsa_kernel _ZN9rocsparseL14nnz_kernel_colILi256Eii18rocsparse_bfloat16EEv16rocsparse_order_T1_S3_PKT2_lPT0_
		.amdhsa_group_segment_fixed_size 1024
		.amdhsa_private_segment_fixed_size 0
		.amdhsa_kernarg_size 40
		.amdhsa_user_sgpr_count 6
		.amdhsa_user_sgpr_private_segment_buffer 1
		.amdhsa_user_sgpr_dispatch_ptr 0
		.amdhsa_user_sgpr_queue_ptr 0
		.amdhsa_user_sgpr_kernarg_segment_ptr 1
		.amdhsa_user_sgpr_dispatch_id 0
		.amdhsa_user_sgpr_flat_scratch_init 0
		.amdhsa_user_sgpr_private_segment_size 0
		.amdhsa_wavefront_size32 1
		.amdhsa_uses_dynamic_stack 0
		.amdhsa_system_sgpr_private_segment_wavefront_offset 0
		.amdhsa_system_sgpr_workgroup_id_x 1
		.amdhsa_system_sgpr_workgroup_id_y 0
		.amdhsa_system_sgpr_workgroup_id_z 0
		.amdhsa_system_sgpr_workgroup_info 0
		.amdhsa_system_vgpr_workitem_id 0
		.amdhsa_next_free_vgpr 11
		.amdhsa_next_free_sgpr 14
		.amdhsa_reserve_vcc 1
		.amdhsa_reserve_flat_scratch 0
		.amdhsa_float_round_mode_32 0
		.amdhsa_float_round_mode_16_64 0
		.amdhsa_float_denorm_mode_32 3
		.amdhsa_float_denorm_mode_16_64 3
		.amdhsa_dx10_clamp 1
		.amdhsa_ieee_mode 1
		.amdhsa_fp16_overflow 0
		.amdhsa_workgroup_processor_mode 1
		.amdhsa_memory_ordered 1
		.amdhsa_forward_progress 1
		.amdhsa_shared_vgpr_count 0
		.amdhsa_exception_fp_ieee_invalid_op 0
		.amdhsa_exception_fp_denorm_src 0
		.amdhsa_exception_fp_ieee_div_zero 0
		.amdhsa_exception_fp_ieee_overflow 0
		.amdhsa_exception_fp_ieee_underflow 0
		.amdhsa_exception_fp_ieee_inexact 0
		.amdhsa_exception_int_div_zero 0
	.end_amdhsa_kernel
	.section	.text._ZN9rocsparseL14nnz_kernel_colILi256Eii18rocsparse_bfloat16EEv16rocsparse_order_T1_S3_PKT2_lPT0_,"axG",@progbits,_ZN9rocsparseL14nnz_kernel_colILi256Eii18rocsparse_bfloat16EEv16rocsparse_order_T1_S3_PKT2_lPT0_,comdat
.Lfunc_end3:
	.size	_ZN9rocsparseL14nnz_kernel_colILi256Eii18rocsparse_bfloat16EEv16rocsparse_order_T1_S3_PKT2_lPT0_, .Lfunc_end3-_ZN9rocsparseL14nnz_kernel_colILi256Eii18rocsparse_bfloat16EEv16rocsparse_order_T1_S3_PKT2_lPT0_
                                        ; -- End function
	.set _ZN9rocsparseL14nnz_kernel_colILi256Eii18rocsparse_bfloat16EEv16rocsparse_order_T1_S3_PKT2_lPT0_.num_vgpr, 11
	.set _ZN9rocsparseL14nnz_kernel_colILi256Eii18rocsparse_bfloat16EEv16rocsparse_order_T1_S3_PKT2_lPT0_.num_agpr, 0
	.set _ZN9rocsparseL14nnz_kernel_colILi256Eii18rocsparse_bfloat16EEv16rocsparse_order_T1_S3_PKT2_lPT0_.numbered_sgpr, 14
	.set _ZN9rocsparseL14nnz_kernel_colILi256Eii18rocsparse_bfloat16EEv16rocsparse_order_T1_S3_PKT2_lPT0_.num_named_barrier, 0
	.set _ZN9rocsparseL14nnz_kernel_colILi256Eii18rocsparse_bfloat16EEv16rocsparse_order_T1_S3_PKT2_lPT0_.private_seg_size, 0
	.set _ZN9rocsparseL14nnz_kernel_colILi256Eii18rocsparse_bfloat16EEv16rocsparse_order_T1_S3_PKT2_lPT0_.uses_vcc, 1
	.set _ZN9rocsparseL14nnz_kernel_colILi256Eii18rocsparse_bfloat16EEv16rocsparse_order_T1_S3_PKT2_lPT0_.uses_flat_scratch, 0
	.set _ZN9rocsparseL14nnz_kernel_colILi256Eii18rocsparse_bfloat16EEv16rocsparse_order_T1_S3_PKT2_lPT0_.has_dyn_sized_stack, 0
	.set _ZN9rocsparseL14nnz_kernel_colILi256Eii18rocsparse_bfloat16EEv16rocsparse_order_T1_S3_PKT2_lPT0_.has_recursion, 0
	.set _ZN9rocsparseL14nnz_kernel_colILi256Eii18rocsparse_bfloat16EEv16rocsparse_order_T1_S3_PKT2_lPT0_.has_indirect_call, 0
	.section	.AMDGPU.csdata,"",@progbits
; Kernel info:
; codeLenInByte = 1556
; TotalNumSgprs: 16
; NumVgprs: 11
; ScratchSize: 0
; MemoryBound: 0
; FloatMode: 240
; IeeeMode: 1
; LDSByteSize: 1024 bytes/workgroup (compile time only)
; SGPRBlocks: 0
; VGPRBlocks: 1
; NumSGPRsForWavesPerEU: 16
; NumVGPRsForWavesPerEU: 11
; Occupancy: 16
; WaveLimiterHint : 0
; COMPUTE_PGM_RSRC2:SCRATCH_EN: 0
; COMPUTE_PGM_RSRC2:USER_SGPR: 6
; COMPUTE_PGM_RSRC2:TRAP_HANDLER: 0
; COMPUTE_PGM_RSRC2:TGID_X_EN: 1
; COMPUTE_PGM_RSRC2:TGID_Y_EN: 0
; COMPUTE_PGM_RSRC2:TGID_Z_EN: 0
; COMPUTE_PGM_RSRC2:TIDIG_COMP_CNT: 0
	.section	.text._ZN9rocsparseL14nnz_kernel_rowILi64ELi16EiifEEv16rocsparse_order_T2_S2_PKT3_lPT1_,"axG",@progbits,_ZN9rocsparseL14nnz_kernel_rowILi64ELi16EiifEEv16rocsparse_order_T2_S2_PKT3_lPT1_,comdat
	.globl	_ZN9rocsparseL14nnz_kernel_rowILi64ELi16EiifEEv16rocsparse_order_T2_S2_PKT3_lPT1_ ; -- Begin function _ZN9rocsparseL14nnz_kernel_rowILi64ELi16EiifEEv16rocsparse_order_T2_S2_PKT3_lPT1_
	.p2align	8
	.type	_ZN9rocsparseL14nnz_kernel_rowILi64ELi16EiifEEv16rocsparse_order_T2_S2_PKT3_lPT1_,@function
_ZN9rocsparseL14nnz_kernel_rowILi64ELi16EiifEEv16rocsparse_order_T2_S2_PKT3_lPT1_: ; @_ZN9rocsparseL14nnz_kernel_rowILi64ELi16EiifEEv16rocsparse_order_T2_S2_PKT3_lPT1_
; %bb.0:
	s_clause 0x2
	s_load_dword s0, s[4:5], 0x34
	s_load_dwordx8 s[8:15], s[4:5], 0x0
	s_load_dwordx2 s[16:17], s[4:5], 0x20
	s_lshl_b32 s5, s6, 8
	s_mov_b32 s19, 0
	s_mov_b32 s18, exec_lo
	s_waitcnt lgkmcnt(0)
	s_and_b32 s0, s0, 0xffff
	v_mad_u32_u24 v14, v1, s0, v0
	v_mov_b32_e32 v0, 0
	s_ashr_i32 s0, s10, 31
	s_lshr_b32 s0, s0, 26
	v_and_b32_e32 v15, 63, v14
	v_lshrrev_b32_e32 v2, 4, v14
	v_mov_b32_e32 v1, v0
	v_mov_b32_e32 v3, v0
	s_add_i32 s11, s10, s0
	v_or_b32_e32 v10, s5, v15
	v_and_b32_e32 v8, 0x7ffffc, v2
	v_mov_b32_e32 v2, v0
	s_andn2_b32 s11, s11, 63
	v_or_b32_e32 v18, 64, v10
	v_or_b32_e32 v17, 0x80, v10
	;; [unrolled: 1-line block ×3, first 2 shown]
	v_cmpx_gt_i32_e64 s11, v8
	s_cbranch_execz .LBB4_28
; %bb.1:
	v_lshrrev_b32_e32 v27, 6, v14
	v_add_nc_u32_e32 v1, s5, v15
	v_cmp_gt_i32_e64 s0, s9, v10
	v_cmp_gt_i32_e64 s1, s9, v18
	;; [unrolled: 1-line block ×3, first 2 shown]
	v_lshlrev_b32_e32 v28, 2, v27
	v_ashrrev_i32_e32 v2, 31, v1
	v_mul_lo_u32 v9, s15, v1
	v_mad_u64_u32 v[3:4], null, s14, v1, 0
	v_or_b32_e32 v7, 3, v28
	v_mul_lo_u32 v12, s14, v2
	v_add_nc_u32_e32 v11, 64, v1
	v_or_b32_e32 v13, 2, v28
	v_lshlrev_b64 v[29:30], 2, v[1:2]
	v_mad_u64_u32 v[5:6], null, s14, v7, 0
	v_ashrrev_i32_e32 v23, 31, v11
	v_mad_u64_u32 v[21:22], null, s14, v13, 0
	v_add3_u32 v4, v4, v12, v9
	v_mul_lo_u32 v25, s15, v11
	v_mad_u64_u32 v[19:20], null, s14, v11, 0
	v_mov_b32_e32 v2, v6
	v_lshlrev_b32_e32 v31, 4, v27
	v_add_nc_u32_e32 v32, 0x80, v1
	v_cmp_gt_i32_e64 s3, s9, v16
	s_cmp_lg_u32 s8, 1
	v_mad_u64_u32 v[6:7], null, s15, v7, v[2:3]
	v_mul_lo_u32 v7, s14, v23
	v_lshlrev_b64 v[3:4], 2, v[3:4]
	v_mov_b32_e32 v2, v22
	v_mad_u64_u32 v[23:24], null, s14, v28, s[14:15]
	v_ashrrev_i32_e32 v33, 31, v32
	v_lshlrev_b64 v[5:6], 2, v[5:6]
	v_add_co_u32 v9, vcc_lo, v3, v31
	v_add3_u32 v20, v20, v7, v25
	v_mad_u64_u32 v[25:26], null, s15, v13, v[2:3]
	v_add_co_ci_u32_e64 v11, null, 0, v4, vcc_lo
	v_add_co_u32 v12, vcc_lo, v5, v29
	v_add_co_ci_u32_e64 v13, null, v6, v30, vcc_lo
	v_lshlrev_b64 v[2:3], 2, v[19:20]
	v_mad_u64_u32 v[5:6], null, s14, v32, 0
	v_mov_b32_e32 v22, v25
	v_mul_lo_u32 v7, s14, v33
	v_mov_b32_e32 v4, v24
	v_mul_lo_u32 v26, s15, v32
	v_add_co_u32 v19, vcc_lo, v2, v31
	v_add_co_ci_u32_e64 v20, null, 0, v3, vcc_lo
	v_mad_u64_u32 v[24:25], null, s15, v28, v[4:5]
	v_lshlrev_b64 v[3:4], 2, v[21:22]
	v_add_nc_u32_e32 v25, 0xc0, v1
	v_add3_u32 v6, v6, v7, v26
	v_mad_u64_u32 v[1:2], null, s14, v27, 0
	s_cselect_b32 s20, -1, 0
	v_add_co_u32 v21, vcc_lo, v3, v29
	v_ashrrev_i32_e32 v28, 31, v25
	v_add_co_ci_u32_e64 v22, null, v4, v30, vcc_lo
	v_lshlrev_b64 v[3:4], 2, v[5:6]
	v_mul_lo_u32 v32, s15, v25
	v_mul_lo_u32 v28, s14, v28
	v_mad_u64_u32 v[25:26], null, s14, v25, 0
	s_lshl_b64 s[6:7], s[14:15], 8
	v_mad_u64_u32 v[5:6], null, s15, v27, v[2:3]
	v_lshlrev_b64 v[6:7], 2, v[23:24]
	v_add_co_u32 v23, vcc_lo, v3, v31
	v_add3_u32 v26, v26, v28, v32
	v_add_co_ci_u32_e64 v24, null, 0, v4, vcc_lo
	v_mov_b32_e32 v2, v5
	v_lshlrev_b64 v[3:4], 2, v[25:26]
	v_add_co_u32 v25, vcc_lo, v6, v29
	v_lshlrev_b64 v[1:2], 4, v[1:2]
	v_add_co_ci_u32_e64 v26, null, v7, v30, vcc_lo
	v_add_co_u32 v27, vcc_lo, v3, v31
	v_add_co_ci_u32_e64 v28, null, 0, v4, vcc_lo
	v_add_co_u32 v29, vcc_lo, v1, v29
	v_add_co_ci_u32_e64 v30, null, v2, v30, vcc_lo
	v_mov_b32_e32 v1, v0
	v_mov_b32_e32 v2, v0
	;; [unrolled: 1-line block ×3, first 2 shown]
	s_branch .LBB4_4
.LBB4_2:                                ;   in Loop: Header=BB4_4 Depth=1
	v_mov_b32_e32 v0, v4
	v_mov_b32_e32 v1, v5
	;; [unrolled: 1-line block ×4, first 2 shown]
.LBB4_3:                                ;   in Loop: Header=BB4_4 Depth=1
	s_or_b32 exec_lo, exec_lo, s4
	v_add_co_u32 v9, vcc_lo, 0x100, v9
	v_add_co_ci_u32_e64 v11, null, 0, v11, vcc_lo
	v_add_co_u32 v12, vcc_lo, v12, s6
	v_add_co_ci_u32_e64 v13, null, s7, v13, vcc_lo
	;; [unrolled: 2-line block ×4, first 2 shown]
	v_add_co_u32 v23, vcc_lo, 0x100, v23
	v_add_nc_u32_e32 v8, 64, v8
	v_add_co_ci_u32_e64 v24, null, 0, v24, vcc_lo
	v_add_co_u32 v25, vcc_lo, v25, s6
	v_add_co_ci_u32_e64 v26, null, s7, v26, vcc_lo
	v_add_co_u32 v27, vcc_lo, 0x100, v27
	v_add_co_ci_u32_e64 v28, null, 0, v28, vcc_lo
	v_cmp_le_i32_e32 vcc_lo, s11, v8
	v_add_co_u32 v29, s4, v29, s6
	v_add_co_ci_u32_e64 v30, null, s7, v30, s4
	s_or_b32 s19, vcc_lo, s19
	s_andn2_b32 exec_lo, exec_lo, s19
	s_cbranch_execz .LBB4_27
.LBB4_4:                                ; =>This Inner Loop Header: Depth=1
	s_and_saveexec_b32 s4, s0
	s_cbranch_execnz .LBB4_8
; %bb.5:                                ;   in Loop: Header=BB4_4 Depth=1
	s_or_b32 exec_lo, exec_lo, s4
	s_and_saveexec_b32 s4, s1
	s_cbranch_execnz .LBB4_13
.LBB4_6:                                ;   in Loop: Header=BB4_4 Depth=1
	s_or_b32 exec_lo, exec_lo, s4
	s_and_saveexec_b32 s4, s2
	s_cbranch_execnz .LBB4_18
.LBB4_7:                                ;   in Loop: Header=BB4_4 Depth=1
	s_or_b32 exec_lo, exec_lo, s4
	s_and_saveexec_b32 s4, s3
	s_cbranch_execz .LBB4_3
	s_branch .LBB4_23
.LBB4_8:                                ;   in Loop: Header=BB4_4 Depth=1
	v_add_nc_u32_e32 v31, 1, v0
	s_andn2_b32 vcc_lo, exec_lo, s20
	s_mov_b32 s21, -1
                                        ; implicit-def: $vgpr4_vgpr5_vgpr6_vgpr7
	s_cbranch_vccnz .LBB4_10
; %bb.9:                                ;   in Loop: Header=BB4_4 Depth=1
	v_add_co_u32 v4, vcc_lo, s12, v9
	v_add_co_ci_u32_e64 v5, null, s13, v11, vcc_lo
	s_mov_b32 s21, 0
	global_load_dwordx4 v[4:7], v[4:5], off
	s_waitcnt vmcnt(0)
	v_cmp_neq_f32_e32 vcc_lo, 0, v4
	v_cndmask_b32_e32 v4, v0, v31, vcc_lo
	v_cmp_neq_f32_e32 vcc_lo, 0, v5
	v_add_nc_u32_e32 v32, 1, v4
	v_cndmask_b32_e32 v4, v4, v32, vcc_lo
	v_cmp_neq_f32_e32 vcc_lo, 0, v6
	v_mov_b32_e32 v6, v2
	v_add_nc_u32_e32 v5, 1, v4
	v_cndmask_b32_e32 v4, v4, v5, vcc_lo
	v_cmp_neq_f32_e32 vcc_lo, 0, v7
	v_mov_b32_e32 v5, v1
	v_mov_b32_e32 v7, v3
	v_add_nc_u32_e32 v32, 1, v4
	v_cndmask_b32_e32 v4, v4, v32, vcc_lo
.LBB4_10:                               ;   in Loop: Header=BB4_4 Depth=1
	s_andn2_b32 vcc_lo, exec_lo, s21
	s_cbranch_vccnz .LBB4_12
; %bb.11:                               ;   in Loop: Header=BB4_4 Depth=1
	v_add_co_u32 v4, vcc_lo, s12, v29
	v_add_co_ci_u32_e64 v5, null, s13, v30, vcc_lo
	global_load_dword v6, v[4:5], off
	v_add_co_u32 v4, vcc_lo, s12, v25
	v_add_co_ci_u32_e64 v5, null, s13, v26, vcc_lo
	global_load_dword v7, v[4:5], off
	;; [unrolled: 3-line block ×4, first 2 shown]
	s_waitcnt vmcnt(3)
	v_cmp_neq_f32_e32 vcc_lo, 0, v6
	v_cndmask_b32_e32 v0, v0, v31, vcc_lo
	s_waitcnt vmcnt(2)
	v_cmp_neq_f32_e32 vcc_lo, 0, v7
	v_add_nc_u32_e32 v5, 1, v0
	v_cndmask_b32_e32 v0, v0, v5, vcc_lo
	s_waitcnt vmcnt(1)
	v_cmp_neq_f32_e32 vcc_lo, 0, v32
	v_add_nc_u32_e32 v5, 1, v0
	;; [unrolled: 4-line block ×3, first 2 shown]
	v_cndmask_b32_e32 v0, v0, v5, vcc_lo
	v_mov_b32_e32 v7, v3
	v_mov_b32_e32 v6, v2
	;; [unrolled: 1-line block ×4, first 2 shown]
.LBB4_12:                               ;   in Loop: Header=BB4_4 Depth=1
	v_mov_b32_e32 v0, v4
	v_mov_b32_e32 v1, v5
	;; [unrolled: 1-line block ×4, first 2 shown]
	s_or_b32 exec_lo, exec_lo, s4
	s_and_saveexec_b32 s4, s1
	s_cbranch_execz .LBB4_6
.LBB4_13:                               ;   in Loop: Header=BB4_4 Depth=1
	v_add_nc_u32_e32 v31, 1, v1
	s_andn2_b32 vcc_lo, exec_lo, s20
	s_mov_b32 s21, -1
                                        ; implicit-def: $vgpr4_vgpr5_vgpr6_vgpr7
	s_cbranch_vccnz .LBB4_15
; %bb.14:                               ;   in Loop: Header=BB4_4 Depth=1
	v_add_co_u32 v4, vcc_lo, s12, v19
	v_add_co_ci_u32_e64 v5, null, s13, v20, vcc_lo
	s_mov_b32 s21, 0
	global_load_dwordx4 v[4:7], v[4:5], off
	s_waitcnt vmcnt(0)
	v_cmp_neq_f32_e32 vcc_lo, 0, v4
	v_cndmask_b32_e32 v4, v1, v31, vcc_lo
	v_cmp_neq_f32_e32 vcc_lo, 0, v5
	v_add_nc_u32_e32 v32, 1, v4
	v_cndmask_b32_e32 v4, v4, v32, vcc_lo
	v_cmp_neq_f32_e32 vcc_lo, 0, v6
	v_mov_b32_e32 v6, v2
	v_add_nc_u32_e32 v5, 1, v4
	v_cndmask_b32_e32 v5, v4, v5, vcc_lo
	v_cmp_neq_f32_e32 vcc_lo, 0, v7
	v_mov_b32_e32 v4, v0
	v_mov_b32_e32 v7, v3
	v_add_nc_u32_e32 v32, 1, v5
	v_cndmask_b32_e32 v5, v5, v32, vcc_lo
.LBB4_15:                               ;   in Loop: Header=BB4_4 Depth=1
	s_andn2_b32 vcc_lo, exec_lo, s21
	s_cbranch_vccnz .LBB4_17
; %bb.16:                               ;   in Loop: Header=BB4_4 Depth=1
	v_add_co_u32 v4, vcc_lo, s12, v29
	v_add_co_ci_u32_e64 v5, null, s13, v30, vcc_lo
	global_load_dword v6, v[4:5], off offset:256
	v_add_co_u32 v4, vcc_lo, s12, v25
	v_add_co_ci_u32_e64 v5, null, s13, v26, vcc_lo
	global_load_dword v7, v[4:5], off offset:256
	;; [unrolled: 3-line block ×4, first 2 shown]
	s_waitcnt vmcnt(3)
	v_cmp_neq_f32_e32 vcc_lo, 0, v6
	v_cndmask_b32_e32 v1, v1, v31, vcc_lo
	s_waitcnt vmcnt(2)
	v_cmp_neq_f32_e32 vcc_lo, 0, v7
	v_add_nc_u32_e32 v5, 1, v1
	v_cndmask_b32_e32 v1, v1, v5, vcc_lo
	s_waitcnt vmcnt(1)
	v_cmp_neq_f32_e32 vcc_lo, 0, v32
	v_add_nc_u32_e32 v5, 1, v1
	;; [unrolled: 4-line block ×3, first 2 shown]
	v_cndmask_b32_e32 v1, v1, v5, vcc_lo
	v_mov_b32_e32 v7, v3
	v_mov_b32_e32 v6, v2
	v_mov_b32_e32 v4, v0
	v_mov_b32_e32 v5, v1
.LBB4_17:                               ;   in Loop: Header=BB4_4 Depth=1
	v_mov_b32_e32 v0, v4
	v_mov_b32_e32 v1, v5
	;; [unrolled: 1-line block ×4, first 2 shown]
	s_or_b32 exec_lo, exec_lo, s4
	s_and_saveexec_b32 s4, s2
	s_cbranch_execz .LBB4_7
.LBB4_18:                               ;   in Loop: Header=BB4_4 Depth=1
	v_add_nc_u32_e32 v31, 1, v2
	s_andn2_b32 vcc_lo, exec_lo, s20
	s_mov_b32 s21, -1
                                        ; implicit-def: $vgpr4_vgpr5_vgpr6_vgpr7
	s_cbranch_vccnz .LBB4_20
; %bb.19:                               ;   in Loop: Header=BB4_4 Depth=1
	v_add_co_u32 v4, vcc_lo, s12, v23
	v_add_co_ci_u32_e64 v5, null, s13, v24, vcc_lo
	s_mov_b32 s21, 0
	global_load_dwordx4 v[4:7], v[4:5], off
	s_waitcnt vmcnt(0)
	v_cmp_neq_f32_e32 vcc_lo, 0, v4
	v_cndmask_b32_e32 v4, v2, v31, vcc_lo
	v_cmp_neq_f32_e32 vcc_lo, 0, v5
	v_add_nc_u32_e32 v32, 1, v4
	v_cndmask_b32_e32 v4, v4, v32, vcc_lo
	v_cmp_neq_f32_e32 vcc_lo, 0, v6
	v_add_nc_u32_e32 v5, 1, v4
	v_cndmask_b32_e32 v6, v4, v5, vcc_lo
	v_cmp_neq_f32_e32 vcc_lo, 0, v7
	v_mov_b32_e32 v4, v0
	v_mov_b32_e32 v5, v1
	v_mov_b32_e32 v7, v3
	v_add_nc_u32_e32 v32, 1, v6
	v_cndmask_b32_e32 v6, v6, v32, vcc_lo
.LBB4_20:                               ;   in Loop: Header=BB4_4 Depth=1
	s_andn2_b32 vcc_lo, exec_lo, s21
	s_cbranch_vccnz .LBB4_22
; %bb.21:                               ;   in Loop: Header=BB4_4 Depth=1
	v_add_co_u32 v4, vcc_lo, s12, v29
	v_add_co_ci_u32_e64 v5, null, s13, v30, vcc_lo
	global_load_dword v6, v[4:5], off offset:512
	v_add_co_u32 v4, vcc_lo, s12, v25
	v_add_co_ci_u32_e64 v5, null, s13, v26, vcc_lo
	global_load_dword v7, v[4:5], off offset:512
	;; [unrolled: 3-line block ×4, first 2 shown]
	s_waitcnt vmcnt(3)
	v_cmp_neq_f32_e32 vcc_lo, 0, v6
	v_cndmask_b32_e32 v2, v2, v31, vcc_lo
	s_waitcnt vmcnt(2)
	v_cmp_neq_f32_e32 vcc_lo, 0, v7
	v_add_nc_u32_e32 v5, 1, v2
	v_cndmask_b32_e32 v2, v2, v5, vcc_lo
	s_waitcnt vmcnt(1)
	v_cmp_neq_f32_e32 vcc_lo, 0, v32
	v_add_nc_u32_e32 v5, 1, v2
	;; [unrolled: 4-line block ×3, first 2 shown]
	v_cndmask_b32_e32 v2, v2, v5, vcc_lo
	v_mov_b32_e32 v7, v3
	v_mov_b32_e32 v5, v1
	;; [unrolled: 1-line block ×4, first 2 shown]
.LBB4_22:                               ;   in Loop: Header=BB4_4 Depth=1
	v_mov_b32_e32 v0, v4
	v_mov_b32_e32 v1, v5
	v_mov_b32_e32 v2, v6
	v_mov_b32_e32 v3, v7
	s_or_b32 exec_lo, exec_lo, s4
	s_and_saveexec_b32 s4, s3
	s_cbranch_execz .LBB4_3
.LBB4_23:                               ;   in Loop: Header=BB4_4 Depth=1
	v_add_nc_u32_e32 v31, 1, v3
	s_andn2_b32 vcc_lo, exec_lo, s20
	s_mov_b32 s21, -1
                                        ; implicit-def: $vgpr4_vgpr5_vgpr6_vgpr7
	s_cbranch_vccnz .LBB4_25
; %bb.24:                               ;   in Loop: Header=BB4_4 Depth=1
	v_add_co_u32 v4, vcc_lo, s12, v27
	v_add_co_ci_u32_e64 v5, null, s13, v28, vcc_lo
	s_mov_b32 s21, 0
	global_load_dwordx4 v[4:7], v[4:5], off
	s_waitcnt vmcnt(0)
	v_cmp_neq_f32_e32 vcc_lo, 0, v4
	v_cndmask_b32_e32 v4, v3, v31, vcc_lo
	v_cmp_neq_f32_e32 vcc_lo, 0, v5
	v_add_nc_u32_e32 v32, 1, v4
	v_cndmask_b32_e32 v4, v4, v32, vcc_lo
	v_cmp_neq_f32_e32 vcc_lo, 0, v6
	v_add_nc_u32_e32 v5, 1, v4
	v_cndmask_b32_e32 v6, v4, v5, vcc_lo
	v_cmp_neq_f32_e32 vcc_lo, 0, v7
	v_mov_b32_e32 v4, v0
	v_mov_b32_e32 v5, v1
	v_add_nc_u32_e32 v32, 1, v6
	v_cndmask_b32_e32 v7, v6, v32, vcc_lo
	v_mov_b32_e32 v6, v2
.LBB4_25:                               ;   in Loop: Header=BB4_4 Depth=1
	s_andn2_b32 vcc_lo, exec_lo, s21
	s_cbranch_vccnz .LBB4_2
; %bb.26:                               ;   in Loop: Header=BB4_4 Depth=1
	v_add_co_u32 v4, vcc_lo, s12, v29
	v_add_co_ci_u32_e64 v5, null, s13, v30, vcc_lo
	global_load_dword v6, v[4:5], off offset:768
	v_add_co_u32 v4, vcc_lo, s12, v25
	v_add_co_ci_u32_e64 v5, null, s13, v26, vcc_lo
	global_load_dword v7, v[4:5], off offset:768
	;; [unrolled: 3-line block ×4, first 2 shown]
	s_waitcnt vmcnt(3)
	v_cmp_neq_f32_e32 vcc_lo, 0, v6
	v_cndmask_b32_e32 v3, v3, v31, vcc_lo
	s_waitcnt vmcnt(2)
	v_cmp_neq_f32_e32 vcc_lo, 0, v7
	v_add_nc_u32_e32 v5, 1, v3
	v_cndmask_b32_e32 v3, v3, v5, vcc_lo
	s_waitcnt vmcnt(1)
	v_cmp_neq_f32_e32 vcc_lo, 0, v32
	v_add_nc_u32_e32 v5, 1, v3
	;; [unrolled: 4-line block ×3, first 2 shown]
	v_cndmask_b32_e32 v3, v3, v5, vcc_lo
	v_mov_b32_e32 v7, v3
	v_mov_b32_e32 v6, v2
	;; [unrolled: 1-line block ×4, first 2 shown]
	s_branch .LBB4_2
.LBB4_27:
	s_or_b32 exec_lo, exec_lo, s19
.LBB4_28:
	s_or_b32 exec_lo, exec_lo, s18
	s_sub_i32 s0, s10, s11
	s_cmp_lt_i32 s0, 1
	s_cbranch_scc1 .LBB4_134
; %bb.29:
	v_mov_b32_e32 v9, 0
	v_ashrrev_i32_e32 v11, 31, v10
	s_cmp_lg_u32 s8, 1
	s_cselect_b32 s1, -1, 0
	v_lshlrev_b64 v[4:5], 2, v[8:9]
	v_add_co_u32 v9, s0, s12, v4
	v_add_co_ci_u32_e64 v19, null, s13, v5, s0
	s_mov_b32 s0, exec_lo
	v_cmpx_gt_i32_e64 s9, v10
	s_cbranch_execnz .LBB4_33
; %bb.30:
	s_or_b32 exec_lo, exec_lo, s0
	s_mov_b32 s0, exec_lo
	v_cmpx_gt_i32_e64 s9, v18
	s_cbranch_execnz .LBB4_58
.LBB4_31:
	s_or_b32 exec_lo, exec_lo, s0
	s_mov_b32 s0, exec_lo
	v_cmpx_gt_i32_e64 s9, v17
	s_cbranch_execnz .LBB4_83
.LBB4_32:
	s_or_b32 exec_lo, exec_lo, s0
	s_mov_b32 s2, exec_lo
	v_cmpx_gt_i32_e64 s9, v16
	s_cbranch_execnz .LBB4_108
	s_branch .LBB4_133
.LBB4_33:
	v_mul_lo_u32 v6, s15, v10
	v_mul_lo_u32 v7, s14, v11
	v_mad_u64_u32 v[4:5], null, s14, v10, 0
	s_mov_b32 s2, exec_lo
	v_add3_u32 v5, v5, v7, v6
	v_lshlrev_b64 v[6:7], 2, v[10:11]
	v_lshlrev_b64 v[4:5], 2, v[4:5]
	v_add_co_u32 v20, vcc_lo, s12, v6
	v_add_co_ci_u32_e64 v21, null, s13, v7, vcc_lo
	v_add_co_u32 v12, vcc_lo, v9, v4
	v_add_co_ci_u32_e64 v13, null, v19, v5, vcc_lo
	v_cmpx_gt_i32_e64 s10, v8
	s_cbranch_execz .LBB4_39
; %bb.34:
	s_and_b32 vcc_lo, exec_lo, s1
	s_cbranch_vccz .LBB4_36
; %bb.35:
	global_load_dword v4, v[12:13], off
	s_waitcnt vmcnt(0)
	v_cmp_neq_f32_e32 vcc_lo, 0, v4
	v_mov_b32_e32 v7, v3
	v_mov_b32_e32 v4, v0
	;; [unrolled: 1-line block ×4, first 2 shown]
	v_add_co_ci_u32_e64 v22, null, 0, v0, vcc_lo
	v_mov_b32_e32 v4, v22
	s_cbranch_execz .LBB4_37
	s_branch .LBB4_38
.LBB4_36:
                                        ; implicit-def: $vgpr4_vgpr5_vgpr6_vgpr7
.LBB4_37:
	v_mad_u64_u32 v[4:5], null, s14, v8, 0
	v_mad_u64_u32 v[5:6], null, s15, v8, v[5:6]
	v_lshlrev_b64 v[4:5], 2, v[4:5]
	v_add_co_u32 v4, vcc_lo, v20, v4
	v_add_co_ci_u32_e64 v5, null, v21, v5, vcc_lo
	global_load_dword v4, v[4:5], off
	s_waitcnt vmcnt(0)
	v_cmp_neq_f32_e32 vcc_lo, 0, v4
	v_add_co_ci_u32_e64 v0, null, 0, v0, vcc_lo
	v_mov_b32_e32 v7, v3
	v_mov_b32_e32 v6, v2
	v_mov_b32_e32 v5, v1
	v_mov_b32_e32 v4, v0
.LBB4_38:
	v_mov_b32_e32 v0, v4
	v_mov_b32_e32 v1, v5
	v_mov_b32_e32 v2, v6
	v_mov_b32_e32 v3, v7
.LBB4_39:
	s_or_b32 exec_lo, exec_lo, s2
	v_or_b32_e32 v22, 1, v8
	s_mov_b32 s2, exec_lo
	v_cmpx_gt_i32_e64 s10, v22
	s_cbranch_execz .LBB4_45
; %bb.40:
	s_andn2_b32 vcc_lo, exec_lo, s1
	s_cbranch_vccnz .LBB4_42
; %bb.41:
	global_load_dword v4, v[12:13], off offset:4
	s_waitcnt vmcnt(0)
	v_cmp_neq_f32_e32 vcc_lo, 0, v4
	v_mov_b32_e32 v7, v3
	v_mov_b32_e32 v4, v0
	v_mov_b32_e32 v6, v2
	v_mov_b32_e32 v5, v1
	v_add_co_ci_u32_e64 v23, null, 0, v0, vcc_lo
	v_mov_b32_e32 v4, v23
	s_cbranch_execz .LBB4_43
	s_branch .LBB4_44
.LBB4_42:
                                        ; implicit-def: $vgpr4_vgpr5_vgpr6_vgpr7
.LBB4_43:
	v_mad_u64_u32 v[4:5], null, s14, v22, 0
	v_mad_u64_u32 v[5:6], null, s15, v22, v[5:6]
	v_lshlrev_b64 v[4:5], 2, v[4:5]
	v_add_co_u32 v4, vcc_lo, v20, v4
	v_add_co_ci_u32_e64 v5, null, v21, v5, vcc_lo
	global_load_dword v4, v[4:5], off
	s_waitcnt vmcnt(0)
	v_cmp_neq_f32_e32 vcc_lo, 0, v4
	v_add_co_ci_u32_e64 v0, null, 0, v0, vcc_lo
	v_mov_b32_e32 v7, v3
	v_mov_b32_e32 v6, v2
	v_mov_b32_e32 v5, v1
	v_mov_b32_e32 v4, v0
.LBB4_44:
	v_mov_b32_e32 v0, v4
	v_mov_b32_e32 v1, v5
	v_mov_b32_e32 v2, v6
	v_mov_b32_e32 v3, v7
.LBB4_45:
	s_or_b32 exec_lo, exec_lo, s2
	v_or_b32_e32 v22, 2, v8
	s_mov_b32 s2, exec_lo
	v_cmpx_gt_i32_e64 s10, v22
	s_cbranch_execz .LBB4_51
; %bb.46:
	s_andn2_b32 vcc_lo, exec_lo, s1
	s_cbranch_vccnz .LBB4_48
; %bb.47:
	global_load_dword v4, v[12:13], off offset:8
	s_waitcnt vmcnt(0)
	v_cmp_neq_f32_e32 vcc_lo, 0, v4
	v_mov_b32_e32 v7, v3
	v_mov_b32_e32 v4, v0
	v_mov_b32_e32 v6, v2
	v_mov_b32_e32 v5, v1
	v_add_co_ci_u32_e64 v23, null, 0, v0, vcc_lo
	v_mov_b32_e32 v4, v23
	s_cbranch_execz .LBB4_49
	s_branch .LBB4_50
.LBB4_48:
                                        ; implicit-def: $vgpr4_vgpr5_vgpr6_vgpr7
.LBB4_49:
	v_mad_u64_u32 v[4:5], null, s14, v22, 0
	v_mad_u64_u32 v[5:6], null, s15, v22, v[5:6]
	v_lshlrev_b64 v[4:5], 2, v[4:5]
	v_add_co_u32 v4, vcc_lo, v20, v4
	v_add_co_ci_u32_e64 v5, null, v21, v5, vcc_lo
	global_load_dword v4, v[4:5], off
	s_waitcnt vmcnt(0)
	v_cmp_neq_f32_e32 vcc_lo, 0, v4
	v_add_co_ci_u32_e64 v0, null, 0, v0, vcc_lo
	v_mov_b32_e32 v7, v3
	v_mov_b32_e32 v6, v2
	v_mov_b32_e32 v5, v1
	v_mov_b32_e32 v4, v0
.LBB4_50:
	v_mov_b32_e32 v0, v4
	v_mov_b32_e32 v1, v5
	v_mov_b32_e32 v2, v6
	v_mov_b32_e32 v3, v7
.LBB4_51:
	;; [unrolled: 42-line block ×3, first 2 shown]
	s_or_b32 exec_lo, exec_lo, s2
	s_or_b32 exec_lo, exec_lo, s0
	s_mov_b32 s0, exec_lo
	v_cmpx_gt_i32_e64 s9, v18
	s_cbranch_execz .LBB4_31
.LBB4_58:
	v_ashrrev_i32_e32 v6, 31, v18
	v_mul_lo_u32 v7, s15, v18
	v_mad_u64_u32 v[4:5], null, s14, v18, 0
	s_mov_b32 s2, exec_lo
	v_mul_lo_u32 v6, s14, v6
	v_add3_u32 v5, v5, v6, v7
	v_lshlrev_b64 v[6:7], 2, v[10:11]
	v_lshlrev_b64 v[4:5], 2, v[4:5]
	v_add_co_u32 v18, vcc_lo, s12, v6
	v_add_co_ci_u32_e64 v20, null, s13, v7, vcc_lo
	v_add_co_u32 v12, vcc_lo, v9, v4
	v_add_co_ci_u32_e64 v13, null, v19, v5, vcc_lo
	v_cmpx_gt_i32_e64 s10, v8
	s_cbranch_execz .LBB4_64
; %bb.59:
	s_andn2_b32 vcc_lo, exec_lo, s1
	s_cbranch_vccnz .LBB4_61
; %bb.60:
	global_load_dword v4, v[12:13], off
	s_waitcnt vmcnt(0)
	v_cmp_neq_f32_e32 vcc_lo, 0, v4
	v_mov_b32_e32 v7, v3
	v_mov_b32_e32 v5, v1
	;; [unrolled: 1-line block ×4, first 2 shown]
	v_add_co_ci_u32_e64 v21, null, 0, v1, vcc_lo
	v_mov_b32_e32 v5, v21
	s_cbranch_execz .LBB4_62
	s_branch .LBB4_63
.LBB4_61:
                                        ; implicit-def: $vgpr4_vgpr5_vgpr6_vgpr7
.LBB4_62:
	v_mad_u64_u32 v[4:5], null, s14, v8, 0
	v_mad_u64_u32 v[5:6], null, s15, v8, v[5:6]
	v_lshlrev_b64 v[4:5], 2, v[4:5]
	v_add_co_u32 v4, vcc_lo, v18, v4
	v_add_co_ci_u32_e64 v5, null, v20, v5, vcc_lo
	global_load_dword v4, v[4:5], off offset:256
	s_waitcnt vmcnt(0)
	v_cmp_neq_f32_e32 vcc_lo, 0, v4
	v_add_co_ci_u32_e64 v1, null, 0, v1, vcc_lo
	v_mov_b32_e32 v7, v3
	v_mov_b32_e32 v6, v2
	;; [unrolled: 1-line block ×4, first 2 shown]
.LBB4_63:
	v_mov_b32_e32 v0, v4
	v_mov_b32_e32 v1, v5
	;; [unrolled: 1-line block ×4, first 2 shown]
.LBB4_64:
	s_or_b32 exec_lo, exec_lo, s2
	v_or_b32_e32 v21, 1, v8
	s_mov_b32 s2, exec_lo
	v_cmpx_gt_i32_e64 s10, v21
	s_cbranch_execz .LBB4_70
; %bb.65:
	s_andn2_b32 vcc_lo, exec_lo, s1
	s_cbranch_vccnz .LBB4_67
; %bb.66:
	global_load_dword v4, v[12:13], off offset:4
	s_waitcnt vmcnt(0)
	v_cmp_neq_f32_e32 vcc_lo, 0, v4
	v_mov_b32_e32 v7, v3
	v_mov_b32_e32 v5, v1
	v_mov_b32_e32 v6, v2
	v_mov_b32_e32 v4, v0
	v_add_co_ci_u32_e64 v22, null, 0, v1, vcc_lo
	v_mov_b32_e32 v5, v22
	s_cbranch_execz .LBB4_68
	s_branch .LBB4_69
.LBB4_67:
                                        ; implicit-def: $vgpr4_vgpr5_vgpr6_vgpr7
.LBB4_68:
	v_mad_u64_u32 v[4:5], null, s14, v21, 0
	v_mad_u64_u32 v[5:6], null, s15, v21, v[5:6]
	v_lshlrev_b64 v[4:5], 2, v[4:5]
	v_add_co_u32 v4, vcc_lo, v18, v4
	v_add_co_ci_u32_e64 v5, null, v20, v5, vcc_lo
	global_load_dword v4, v[4:5], off offset:256
	s_waitcnt vmcnt(0)
	v_cmp_neq_f32_e32 vcc_lo, 0, v4
	v_add_co_ci_u32_e64 v1, null, 0, v1, vcc_lo
	v_mov_b32_e32 v7, v3
	v_mov_b32_e32 v6, v2
	v_mov_b32_e32 v4, v0
	v_mov_b32_e32 v5, v1
.LBB4_69:
	v_mov_b32_e32 v0, v4
	v_mov_b32_e32 v1, v5
	v_mov_b32_e32 v2, v6
	v_mov_b32_e32 v3, v7
.LBB4_70:
	s_or_b32 exec_lo, exec_lo, s2
	v_or_b32_e32 v21, 2, v8
	s_mov_b32 s2, exec_lo
	v_cmpx_gt_i32_e64 s10, v21
	s_cbranch_execz .LBB4_76
; %bb.71:
	s_andn2_b32 vcc_lo, exec_lo, s1
	s_cbranch_vccnz .LBB4_73
; %bb.72:
	global_load_dword v4, v[12:13], off offset:8
	s_waitcnt vmcnt(0)
	v_cmp_neq_f32_e32 vcc_lo, 0, v4
	v_mov_b32_e32 v7, v3
	v_mov_b32_e32 v5, v1
	v_mov_b32_e32 v6, v2
	v_mov_b32_e32 v4, v0
	v_add_co_ci_u32_e64 v22, null, 0, v1, vcc_lo
	v_mov_b32_e32 v5, v22
	s_cbranch_execz .LBB4_74
	s_branch .LBB4_75
.LBB4_73:
                                        ; implicit-def: $vgpr4_vgpr5_vgpr6_vgpr7
.LBB4_74:
	v_mad_u64_u32 v[4:5], null, s14, v21, 0
	v_mad_u64_u32 v[5:6], null, s15, v21, v[5:6]
	v_lshlrev_b64 v[4:5], 2, v[4:5]
	v_add_co_u32 v4, vcc_lo, v18, v4
	v_add_co_ci_u32_e64 v5, null, v20, v5, vcc_lo
	global_load_dword v4, v[4:5], off offset:256
	s_waitcnt vmcnt(0)
	v_cmp_neq_f32_e32 vcc_lo, 0, v4
	v_add_co_ci_u32_e64 v1, null, 0, v1, vcc_lo
	v_mov_b32_e32 v7, v3
	v_mov_b32_e32 v6, v2
	v_mov_b32_e32 v4, v0
	v_mov_b32_e32 v5, v1
.LBB4_75:
	v_mov_b32_e32 v0, v4
	v_mov_b32_e32 v1, v5
	v_mov_b32_e32 v2, v6
	v_mov_b32_e32 v3, v7
.LBB4_76:
	;; [unrolled: 42-line block ×3, first 2 shown]
	s_or_b32 exec_lo, exec_lo, s2
	s_or_b32 exec_lo, exec_lo, s0
	s_mov_b32 s0, exec_lo
	v_cmpx_gt_i32_e64 s9, v17
	s_cbranch_execz .LBB4_32
.LBB4_83:
	v_ashrrev_i32_e32 v6, 31, v17
	v_mul_lo_u32 v7, s15, v17
	v_mad_u64_u32 v[4:5], null, s14, v17, 0
	s_mov_b32 s2, exec_lo
	v_mul_lo_u32 v6, s14, v6
	v_add3_u32 v5, v5, v6, v7
	v_lshlrev_b64 v[6:7], 2, v[10:11]
	v_lshlrev_b64 v[4:5], 2, v[4:5]
	v_add_co_u32 v17, vcc_lo, s12, v6
	v_add_co_ci_u32_e64 v18, null, s13, v7, vcc_lo
	v_add_co_u32 v12, vcc_lo, v9, v4
	v_add_co_ci_u32_e64 v13, null, v19, v5, vcc_lo
	v_cmpx_gt_i32_e64 s10, v8
	s_cbranch_execz .LBB4_89
; %bb.84:
	s_andn2_b32 vcc_lo, exec_lo, s1
	s_cbranch_vccnz .LBB4_86
; %bb.85:
	global_load_dword v4, v[12:13], off
	s_waitcnt vmcnt(0)
	v_cmp_neq_f32_e32 vcc_lo, 0, v4
	v_mov_b32_e32 v7, v3
	v_mov_b32_e32 v6, v2
	;; [unrolled: 1-line block ×4, first 2 shown]
	v_add_co_ci_u32_e64 v20, null, 0, v2, vcc_lo
	v_mov_b32_e32 v6, v20
	s_cbranch_execz .LBB4_87
	s_branch .LBB4_88
.LBB4_86:
                                        ; implicit-def: $vgpr4_vgpr5_vgpr6_vgpr7
.LBB4_87:
	v_mad_u64_u32 v[4:5], null, s14, v8, 0
	v_mad_u64_u32 v[5:6], null, s15, v8, v[5:6]
	v_lshlrev_b64 v[4:5], 2, v[4:5]
	v_add_co_u32 v4, vcc_lo, v17, v4
	v_add_co_ci_u32_e64 v5, null, v18, v5, vcc_lo
	global_load_dword v4, v[4:5], off offset:512
	s_waitcnt vmcnt(0)
	v_cmp_neq_f32_e32 vcc_lo, 0, v4
	v_add_co_ci_u32_e64 v2, null, 0, v2, vcc_lo
	v_mov_b32_e32 v7, v3
	v_mov_b32_e32 v5, v1
	;; [unrolled: 1-line block ×4, first 2 shown]
.LBB4_88:
	v_mov_b32_e32 v0, v4
	v_mov_b32_e32 v1, v5
	;; [unrolled: 1-line block ×4, first 2 shown]
.LBB4_89:
	s_or_b32 exec_lo, exec_lo, s2
	v_or_b32_e32 v20, 1, v8
	s_mov_b32 s2, exec_lo
	v_cmpx_gt_i32_e64 s10, v20
	s_cbranch_execz .LBB4_95
; %bb.90:
	s_andn2_b32 vcc_lo, exec_lo, s1
	s_cbranch_vccnz .LBB4_92
; %bb.91:
	global_load_dword v4, v[12:13], off offset:4
	s_waitcnt vmcnt(0)
	v_cmp_neq_f32_e32 vcc_lo, 0, v4
	v_mov_b32_e32 v7, v3
	v_mov_b32_e32 v6, v2
	v_mov_b32_e32 v5, v1
	v_mov_b32_e32 v4, v0
	v_add_co_ci_u32_e64 v21, null, 0, v2, vcc_lo
	v_mov_b32_e32 v6, v21
	s_cbranch_execz .LBB4_93
	s_branch .LBB4_94
.LBB4_92:
                                        ; implicit-def: $vgpr4_vgpr5_vgpr6_vgpr7
.LBB4_93:
	v_mad_u64_u32 v[4:5], null, s14, v20, 0
	v_mad_u64_u32 v[5:6], null, s15, v20, v[5:6]
	v_lshlrev_b64 v[4:5], 2, v[4:5]
	v_add_co_u32 v4, vcc_lo, v17, v4
	v_add_co_ci_u32_e64 v5, null, v18, v5, vcc_lo
	global_load_dword v4, v[4:5], off offset:512
	s_waitcnt vmcnt(0)
	v_cmp_neq_f32_e32 vcc_lo, 0, v4
	v_add_co_ci_u32_e64 v2, null, 0, v2, vcc_lo
	v_mov_b32_e32 v7, v3
	v_mov_b32_e32 v5, v1
	v_mov_b32_e32 v4, v0
	v_mov_b32_e32 v6, v2
.LBB4_94:
	v_mov_b32_e32 v0, v4
	v_mov_b32_e32 v1, v5
	v_mov_b32_e32 v2, v6
	v_mov_b32_e32 v3, v7
.LBB4_95:
	s_or_b32 exec_lo, exec_lo, s2
	v_or_b32_e32 v20, 2, v8
	s_mov_b32 s2, exec_lo
	v_cmpx_gt_i32_e64 s10, v20
	s_cbranch_execz .LBB4_101
; %bb.96:
	s_andn2_b32 vcc_lo, exec_lo, s1
	s_cbranch_vccnz .LBB4_98
; %bb.97:
	global_load_dword v4, v[12:13], off offset:8
	s_waitcnt vmcnt(0)
	v_cmp_neq_f32_e32 vcc_lo, 0, v4
	v_mov_b32_e32 v7, v3
	v_mov_b32_e32 v6, v2
	v_mov_b32_e32 v5, v1
	v_mov_b32_e32 v4, v0
	v_add_co_ci_u32_e64 v21, null, 0, v2, vcc_lo
	v_mov_b32_e32 v6, v21
	s_cbranch_execz .LBB4_99
	s_branch .LBB4_100
.LBB4_98:
                                        ; implicit-def: $vgpr4_vgpr5_vgpr6_vgpr7
.LBB4_99:
	v_mad_u64_u32 v[4:5], null, s14, v20, 0
	v_mad_u64_u32 v[5:6], null, s15, v20, v[5:6]
	v_lshlrev_b64 v[4:5], 2, v[4:5]
	v_add_co_u32 v4, vcc_lo, v17, v4
	v_add_co_ci_u32_e64 v5, null, v18, v5, vcc_lo
	global_load_dword v4, v[4:5], off offset:512
	s_waitcnt vmcnt(0)
	v_cmp_neq_f32_e32 vcc_lo, 0, v4
	v_add_co_ci_u32_e64 v2, null, 0, v2, vcc_lo
	v_mov_b32_e32 v7, v3
	v_mov_b32_e32 v5, v1
	v_mov_b32_e32 v4, v0
	v_mov_b32_e32 v6, v2
.LBB4_100:
	v_mov_b32_e32 v0, v4
	v_mov_b32_e32 v1, v5
	v_mov_b32_e32 v2, v6
	v_mov_b32_e32 v3, v7
.LBB4_101:
	;; [unrolled: 42-line block ×3, first 2 shown]
	s_or_b32 exec_lo, exec_lo, s2
	s_or_b32 exec_lo, exec_lo, s0
	s_mov_b32 s2, exec_lo
	v_cmpx_gt_i32_e64 s9, v16
	s_cbranch_execz .LBB4_133
.LBB4_108:
	v_ashrrev_i32_e32 v6, 31, v16
	v_mul_lo_u32 v7, s15, v16
	v_mad_u64_u32 v[4:5], null, s14, v16, 0
	v_cndmask_b32_e64 v13, 0, 1, s1
	v_mul_lo_u32 v6, s14, v6
	v_add3_u32 v5, v5, v6, v7
	v_lshlrev_b64 v[6:7], 2, v[10:11]
	v_lshlrev_b64 v[4:5], 2, v[4:5]
	v_add_co_u32 v11, s0, s12, v6
	v_add_co_ci_u32_e64 v12, null, s13, v7, s0
	v_add_co_u32 v9, s0, v9, v4
	v_add_co_ci_u32_e64 v10, null, v19, v5, s0
	s_mov_b32 s0, exec_lo
	v_cmpx_gt_i32_e64 s10, v8
	s_cbranch_execz .LBB4_114
; %bb.109:
	s_andn2_b32 vcc_lo, exec_lo, s1
	s_cbranch_vccnz .LBB4_111
; %bb.110:
	global_load_dword v4, v[9:10], off
	s_waitcnt vmcnt(0)
	v_cmp_neq_f32_e32 vcc_lo, 0, v4
	v_mov_b32_e32 v7, v3
	v_mov_b32_e32 v6, v2
	;; [unrolled: 1-line block ×4, first 2 shown]
	v_add_co_ci_u32_e64 v16, null, 0, v3, vcc_lo
	v_mov_b32_e32 v7, v16
	s_cbranch_execz .LBB4_112
	s_branch .LBB4_113
.LBB4_111:
                                        ; implicit-def: $vgpr4_vgpr5_vgpr6_vgpr7
.LBB4_112:
	v_mad_u64_u32 v[4:5], null, s14, v8, 0
	v_mad_u64_u32 v[5:6], null, s15, v8, v[5:6]
	v_lshlrev_b64 v[4:5], 2, v[4:5]
	v_add_co_u32 v4, vcc_lo, v11, v4
	v_add_co_ci_u32_e64 v5, null, v12, v5, vcc_lo
	global_load_dword v4, v[4:5], off offset:768
	s_waitcnt vmcnt(0)
	v_cmp_neq_f32_e32 vcc_lo, 0, v4
	v_add_co_ci_u32_e64 v3, null, 0, v3, vcc_lo
	v_mov_b32_e32 v7, v3
	v_mov_b32_e32 v6, v2
	;; [unrolled: 1-line block ×4, first 2 shown]
.LBB4_113:
	v_mov_b32_e32 v0, v4
	v_mov_b32_e32 v1, v5
	;; [unrolled: 1-line block ×4, first 2 shown]
.LBB4_114:
	s_or_b32 exec_lo, exec_lo, s0
	v_or_b32_e32 v16, 1, v8
	s_mov_b32 s0, exec_lo
	v_cmpx_gt_i32_e64 s10, v16
	s_cbranch_execz .LBB4_120
; %bb.115:
	v_cmp_ne_u32_e32 vcc_lo, 1, v13
	s_cbranch_vccnz .LBB4_117
; %bb.116:
	global_load_dword v4, v[9:10], off offset:4
	s_waitcnt vmcnt(0)
	v_cmp_neq_f32_e32 vcc_lo, 0, v4
	v_mov_b32_e32 v7, v3
	v_mov_b32_e32 v6, v2
	v_mov_b32_e32 v5, v1
	v_mov_b32_e32 v4, v0
	v_add_co_ci_u32_e64 v17, null, 0, v3, vcc_lo
	v_mov_b32_e32 v7, v17
	s_cbranch_execz .LBB4_118
	s_branch .LBB4_119
.LBB4_117:
                                        ; implicit-def: $vgpr4_vgpr5_vgpr6_vgpr7
.LBB4_118:
	v_mad_u64_u32 v[4:5], null, s14, v16, 0
	v_mad_u64_u32 v[5:6], null, s15, v16, v[5:6]
	v_lshlrev_b64 v[4:5], 2, v[4:5]
	v_add_co_u32 v4, vcc_lo, v11, v4
	v_add_co_ci_u32_e64 v5, null, v12, v5, vcc_lo
	global_load_dword v4, v[4:5], off offset:768
	s_waitcnt vmcnt(0)
	v_cmp_neq_f32_e32 vcc_lo, 0, v4
	v_add_co_ci_u32_e64 v3, null, 0, v3, vcc_lo
	v_mov_b32_e32 v7, v3
	v_mov_b32_e32 v6, v2
	v_mov_b32_e32 v5, v1
	v_mov_b32_e32 v4, v0
.LBB4_119:
	v_mov_b32_e32 v0, v4
	v_mov_b32_e32 v1, v5
	v_mov_b32_e32 v2, v6
	v_mov_b32_e32 v3, v7
.LBB4_120:
	s_or_b32 exec_lo, exec_lo, s0
	v_or_b32_e32 v16, 2, v8
	s_mov_b32 s0, exec_lo
	v_cmpx_gt_i32_e64 s10, v16
	s_cbranch_execz .LBB4_126
; %bb.121:
	v_cmp_ne_u32_e32 vcc_lo, 1, v13
	s_cbranch_vccnz .LBB4_123
; %bb.122:
	global_load_dword v4, v[9:10], off offset:8
	s_waitcnt vmcnt(0)
	v_cmp_neq_f32_e32 vcc_lo, 0, v4
	v_mov_b32_e32 v7, v3
	v_mov_b32_e32 v6, v2
	v_mov_b32_e32 v5, v1
	v_mov_b32_e32 v4, v0
	v_add_co_ci_u32_e64 v17, null, 0, v3, vcc_lo
	v_mov_b32_e32 v7, v17
	s_cbranch_execz .LBB4_124
	s_branch .LBB4_125
.LBB4_123:
                                        ; implicit-def: $vgpr4_vgpr5_vgpr6_vgpr7
.LBB4_124:
	v_mad_u64_u32 v[4:5], null, s14, v16, 0
	v_mad_u64_u32 v[5:6], null, s15, v16, v[5:6]
	v_lshlrev_b64 v[4:5], 2, v[4:5]
	v_add_co_u32 v4, vcc_lo, v11, v4
	v_add_co_ci_u32_e64 v5, null, v12, v5, vcc_lo
	global_load_dword v4, v[4:5], off offset:768
	s_waitcnt vmcnt(0)
	v_cmp_neq_f32_e32 vcc_lo, 0, v4
	v_add_co_ci_u32_e64 v3, null, 0, v3, vcc_lo
	v_mov_b32_e32 v7, v3
	v_mov_b32_e32 v6, v2
	v_mov_b32_e32 v5, v1
	v_mov_b32_e32 v4, v0
.LBB4_125:
	v_mov_b32_e32 v0, v4
	v_mov_b32_e32 v1, v5
	v_mov_b32_e32 v2, v6
	v_mov_b32_e32 v3, v7
.LBB4_126:
	;; [unrolled: 42-line block ×3, first 2 shown]
	s_or_b32 exec_lo, exec_lo, s0
.LBB4_133:
	s_or_b32 exec_lo, exec_lo, s2
.LBB4_134:
	v_lshlrev_b32_e32 v4, 4, v14
	v_lshlrev_b32_e32 v5, 2, v15
	s_mov_b32 s0, exec_lo
	v_and_or_b32 v4, 0x7ffffc00, v4, v5
	ds_write2st64_b32 v4, v0, v1 offset1:1
	ds_write2st64_b32 v4, v2, v3 offset0:2 offset1:3
	s_waitcnt lgkmcnt(0)
	s_barrier
	buffer_gl0_inv
	v_cmpx_gt_u32_e32 0x100, v14
	s_cbranch_execz .LBB4_137
; %bb.135:
	v_lshlrev_b32_e32 v8, 2, v14
	ds_read2st64_b32 v[0:1], v8 offset1:4
	ds_read2st64_b32 v[2:3], v8 offset0:8 offset1:12
	ds_read2st64_b32 v[4:5], v8 offset0:16 offset1:20
	;; [unrolled: 1-line block ×3, first 2 shown]
	s_waitcnt lgkmcnt(3)
	v_add_nc_u32_e32 v9, v0, v1
	ds_read2st64_b32 v[0:1], v8 offset0:32 offset1:36
	s_waitcnt lgkmcnt(3)
	v_add3_u32 v9, v9, v2, v3
	ds_read2st64_b32 v[2:3], v8 offset0:40 offset1:44
	s_waitcnt lgkmcnt(3)
	v_add3_u32 v9, v9, v4, v5
	;; [unrolled: 3-line block ×4, first 2 shown]
	s_waitcnt lgkmcnt(2)
	v_add3_u32 v0, v0, v2, v3
	s_waitcnt lgkmcnt(1)
	v_add3_u32 v1, v0, v4, v5
	v_add_nc_u32_e32 v0, s5, v14
	s_waitcnt lgkmcnt(0)
	v_add3_u32 v2, v1, v6, v7
	v_cmp_gt_i32_e32 vcc_lo, s9, v0
	ds_write_b32 v8, v2
	s_and_b32 exec_lo, exec_lo, vcc_lo
	s_cbranch_execz .LBB4_137
; %bb.136:
	v_ashrrev_i32_e32 v1, 31, v0
	v_lshlrev_b64 v[0:1], 2, v[0:1]
	v_add_co_u32 v0, vcc_lo, s16, v0
	v_add_co_ci_u32_e64 v1, null, s17, v1, vcc_lo
	global_store_dword v[0:1], v2, off
.LBB4_137:
	s_endpgm
	.section	.rodata,"a",@progbits
	.p2align	6, 0x0
	.amdhsa_kernel _ZN9rocsparseL14nnz_kernel_rowILi64ELi16EiifEEv16rocsparse_order_T2_S2_PKT3_lPT1_
		.amdhsa_group_segment_fixed_size 16384
		.amdhsa_private_segment_fixed_size 0
		.amdhsa_kernarg_size 296
		.amdhsa_user_sgpr_count 6
		.amdhsa_user_sgpr_private_segment_buffer 1
		.amdhsa_user_sgpr_dispatch_ptr 0
		.amdhsa_user_sgpr_queue_ptr 0
		.amdhsa_user_sgpr_kernarg_segment_ptr 1
		.amdhsa_user_sgpr_dispatch_id 0
		.amdhsa_user_sgpr_flat_scratch_init 0
		.amdhsa_user_sgpr_private_segment_size 0
		.amdhsa_wavefront_size32 1
		.amdhsa_uses_dynamic_stack 0
		.amdhsa_system_sgpr_private_segment_wavefront_offset 0
		.amdhsa_system_sgpr_workgroup_id_x 1
		.amdhsa_system_sgpr_workgroup_id_y 0
		.amdhsa_system_sgpr_workgroup_id_z 0
		.amdhsa_system_sgpr_workgroup_info 0
		.amdhsa_system_vgpr_workitem_id 1
		.amdhsa_next_free_vgpr 34
		.amdhsa_next_free_sgpr 22
		.amdhsa_reserve_vcc 1
		.amdhsa_reserve_flat_scratch 0
		.amdhsa_float_round_mode_32 0
		.amdhsa_float_round_mode_16_64 0
		.amdhsa_float_denorm_mode_32 3
		.amdhsa_float_denorm_mode_16_64 3
		.amdhsa_dx10_clamp 1
		.amdhsa_ieee_mode 1
		.amdhsa_fp16_overflow 0
		.amdhsa_workgroup_processor_mode 1
		.amdhsa_memory_ordered 1
		.amdhsa_forward_progress 1
		.amdhsa_shared_vgpr_count 0
		.amdhsa_exception_fp_ieee_invalid_op 0
		.amdhsa_exception_fp_denorm_src 0
		.amdhsa_exception_fp_ieee_div_zero 0
		.amdhsa_exception_fp_ieee_overflow 0
		.amdhsa_exception_fp_ieee_underflow 0
		.amdhsa_exception_fp_ieee_inexact 0
		.amdhsa_exception_int_div_zero 0
	.end_amdhsa_kernel
	.section	.text._ZN9rocsparseL14nnz_kernel_rowILi64ELi16EiifEEv16rocsparse_order_T2_S2_PKT3_lPT1_,"axG",@progbits,_ZN9rocsparseL14nnz_kernel_rowILi64ELi16EiifEEv16rocsparse_order_T2_S2_PKT3_lPT1_,comdat
.Lfunc_end4:
	.size	_ZN9rocsparseL14nnz_kernel_rowILi64ELi16EiifEEv16rocsparse_order_T2_S2_PKT3_lPT1_, .Lfunc_end4-_ZN9rocsparseL14nnz_kernel_rowILi64ELi16EiifEEv16rocsparse_order_T2_S2_PKT3_lPT1_
                                        ; -- End function
	.set _ZN9rocsparseL14nnz_kernel_rowILi64ELi16EiifEEv16rocsparse_order_T2_S2_PKT3_lPT1_.num_vgpr, 34
	.set _ZN9rocsparseL14nnz_kernel_rowILi64ELi16EiifEEv16rocsparse_order_T2_S2_PKT3_lPT1_.num_agpr, 0
	.set _ZN9rocsparseL14nnz_kernel_rowILi64ELi16EiifEEv16rocsparse_order_T2_S2_PKT3_lPT1_.numbered_sgpr, 22
	.set _ZN9rocsparseL14nnz_kernel_rowILi64ELi16EiifEEv16rocsparse_order_T2_S2_PKT3_lPT1_.num_named_barrier, 0
	.set _ZN9rocsparseL14nnz_kernel_rowILi64ELi16EiifEEv16rocsparse_order_T2_S2_PKT3_lPT1_.private_seg_size, 0
	.set _ZN9rocsparseL14nnz_kernel_rowILi64ELi16EiifEEv16rocsparse_order_T2_S2_PKT3_lPT1_.uses_vcc, 1
	.set _ZN9rocsparseL14nnz_kernel_rowILi64ELi16EiifEEv16rocsparse_order_T2_S2_PKT3_lPT1_.uses_flat_scratch, 0
	.set _ZN9rocsparseL14nnz_kernel_rowILi64ELi16EiifEEv16rocsparse_order_T2_S2_PKT3_lPT1_.has_dyn_sized_stack, 0
	.set _ZN9rocsparseL14nnz_kernel_rowILi64ELi16EiifEEv16rocsparse_order_T2_S2_PKT3_lPT1_.has_recursion, 0
	.set _ZN9rocsparseL14nnz_kernel_rowILi64ELi16EiifEEv16rocsparse_order_T2_S2_PKT3_lPT1_.has_indirect_call, 0
	.section	.AMDGPU.csdata,"",@progbits
; Kernel info:
; codeLenInByte = 5832
; TotalNumSgprs: 24
; NumVgprs: 34
; ScratchSize: 0
; MemoryBound: 0
; FloatMode: 240
; IeeeMode: 1
; LDSByteSize: 16384 bytes/workgroup (compile time only)
; SGPRBlocks: 0
; VGPRBlocks: 4
; NumSGPRsForWavesPerEU: 24
; NumVGPRsForWavesPerEU: 34
; Occupancy: 16
; WaveLimiterHint : 0
; COMPUTE_PGM_RSRC2:SCRATCH_EN: 0
; COMPUTE_PGM_RSRC2:USER_SGPR: 6
; COMPUTE_PGM_RSRC2:TRAP_HANDLER: 0
; COMPUTE_PGM_RSRC2:TGID_X_EN: 1
; COMPUTE_PGM_RSRC2:TGID_Y_EN: 0
; COMPUTE_PGM_RSRC2:TGID_Z_EN: 0
; COMPUTE_PGM_RSRC2:TIDIG_COMP_CNT: 1
	.section	.text._ZN9rocsparseL14nnz_kernel_colILi256EiifEEv16rocsparse_order_T1_S2_PKT2_lPT0_,"axG",@progbits,_ZN9rocsparseL14nnz_kernel_colILi256EiifEEv16rocsparse_order_T1_S2_PKT2_lPT0_,comdat
	.globl	_ZN9rocsparseL14nnz_kernel_colILi256EiifEEv16rocsparse_order_T1_S2_PKT2_lPT0_ ; -- Begin function _ZN9rocsparseL14nnz_kernel_colILi256EiifEEv16rocsparse_order_T1_S2_PKT2_lPT0_
	.p2align	8
	.type	_ZN9rocsparseL14nnz_kernel_colILi256EiifEEv16rocsparse_order_T1_S2_PKT2_lPT0_,@function
_ZN9rocsparseL14nnz_kernel_colILi256EiifEEv16rocsparse_order_T1_S2_PKT2_lPT0_: ; @_ZN9rocsparseL14nnz_kernel_colILi256EiifEEv16rocsparse_order_T1_S2_PKT2_lPT0_
; %bb.0:
	s_clause 0x1
	s_load_dwordx2 s[8:9], s[4:5], 0x0
	s_load_dwordx4 s[0:3], s[4:5], 0x10
	s_waitcnt lgkmcnt(0)
	s_ashr_i32 s7, s9, 31
	s_lshr_b32 s7, s7, 24
	s_add_i32 s7, s9, s7
	s_and_b32 s10, s7, 0xffffff00
	s_cmp_eq_u32 s8, 1
	s_cbranch_scc1 .LBB5_6
; %bb.1:
	v_mov_b32_e32 v5, 0
	s_cmpk_lt_i32 s9, 0x100
	s_cbranch_scc1 .LBB5_7
; %bb.2:
	v_mad_u64_u32 v[1:2], null, s2, v0, 0
	s_ashr_i32 s7, s6, 31
	v_mov_b32_e32 v5, 0
	s_lshl_b64 s[12:13], s[6:7], 2
	s_add_u32 s7, s0, s12
	s_addc_u32 s8, s1, s13
	v_mad_u64_u32 v[2:3], null, s3, v0, v[2:3]
	s_lshl_b64 s[12:13], s[2:3], 10
	v_lshlrev_b64 v[1:2], 2, v[1:2]
	v_add_co_u32 v1, vcc_lo, s7, v1
	v_add_co_ci_u32_e64 v2, null, s8, v2, vcc_lo
	s_mov_b32 s7, 0
	s_branch .LBB5_4
	.p2align	6
.LBB5_3:                                ;   in Loop: Header=BB5_4 Depth=1
	s_or_b32 exec_lo, exec_lo, s8
	v_add_co_u32 v1, vcc_lo, v1, s12
	v_add_co_ci_u32_e64 v2, null, s13, v2, vcc_lo
	s_addk_i32 s7, 0x100
	s_cmp_ge_i32 s7, s10
	s_cbranch_scc1 .LBB5_7
.LBB5_4:                                ; =>This Inner Loop Header: Depth=1
	v_add_nc_u32_e32 v3, s7, v0
	s_mov_b32 s8, exec_lo
	v_cmpx_gt_i32_e64 s9, v3
	s_cbranch_execz .LBB5_3
; %bb.5:                                ;   in Loop: Header=BB5_4 Depth=1
	global_load_dword v3, v[1:2], off
	s_waitcnt vmcnt(0)
	v_cmp_neq_f32_e32 vcc_lo, 0, v3
	v_add_co_ci_u32_e64 v5, null, 0, v5, vcc_lo
	s_branch .LBB5_3
.LBB5_6:
                                        ; implicit-def: $vgpr5
	s_load_dwordx2 s[4:5], s[4:5], 0x20
	s_cbranch_execnz .LBB5_10
	s_branch .LBB5_16
.LBB5_7:
	v_add_nc_u32_e32 v1, s10, v0
	s_mov_b32 s8, exec_lo
	v_cmpx_gt_i32_e64 s9, v1
	s_cbranch_execz .LBB5_9
; %bb.8:
	v_ashrrev_i32_e32 v3, 31, v1
	v_mul_lo_u32 v4, s3, v1
	v_mad_u64_u32 v[1:2], null, s2, v1, 0
	s_ashr_i32 s7, s6, 31
	v_mul_lo_u32 v3, s2, v3
	s_lshl_b64 s[12:13], s[6:7], 2
	v_add3_u32 v2, v2, v3, v4
	v_lshlrev_b64 v[1:2], 2, v[1:2]
	v_add_co_u32 v1, vcc_lo, s0, v1
	v_add_co_ci_u32_e64 v2, null, s1, v2, vcc_lo
	v_add_co_u32 v1, vcc_lo, v1, s12
	v_add_co_ci_u32_e64 v2, null, s13, v2, vcc_lo
	global_load_dword v1, v[1:2], off
	s_waitcnt vmcnt(0)
	v_cmp_neq_f32_e32 vcc_lo, 0, v1
	v_add_co_ci_u32_e64 v5, null, 0, v5, vcc_lo
.LBB5_9:
	s_or_b32 exec_lo, exec_lo, s8
	s_load_dwordx2 s[4:5], s[4:5], 0x20
	s_branch .LBB5_16
.LBB5_10:
	v_cmp_gt_i32_e32 vcc_lo, s9, v0
	s_ashr_i32 s7, s6, 31
	s_mul_hi_u32 s8, s2, s6
	s_mul_i32 s7, s2, s7
	s_mul_i32 s3, s3, s6
	v_cndmask_b32_e32 v1, 0, v0, vcc_lo
	s_add_i32 s7, s8, s7
	s_mul_i32 s2, s2, s6
	s_add_i32 s3, s7, s3
	v_mov_b32_e32 v5, 0
	v_lshlrev_b32_e32 v1, 2, v1
	s_lshl_b64 s[2:3], s[2:3], 2
	s_add_u32 s0, s0, s2
	s_addc_u32 s1, s1, s3
	v_add_co_u32 v1, s0, s0, v1
	v_add_co_ci_u32_e64 v2, null, s1, 0, s0
	s_cmpk_lt_i32 s9, 0x100
	s_cbranch_scc1 .LBB5_13
; %bb.11:
	v_mov_b32_e32 v4, v2
	v_mov_b32_e32 v5, 0
	;; [unrolled: 1-line block ×3, first 2 shown]
	s_mov_b32 s0, 0
.LBB5_12:                               ; =>This Inner Loop Header: Depth=1
	global_load_dword v6, v[3:4], off
	v_add_co_u32 v3, vcc_lo, 0x400, v3
	v_add_co_ci_u32_e64 v4, null, 0, v4, vcc_lo
	s_addk_i32 s0, 0x100
	s_cmp_ge_i32 s0, s10
	s_waitcnt vmcnt(0)
	v_cmp_neq_f32_e32 vcc_lo, 0, v6
	v_add_co_ci_u32_e64 v5, null, 0, v5, vcc_lo
	s_cbranch_scc0 .LBB5_12
.LBB5_13:
	v_add_nc_u32_e32 v3, s10, v0
	s_mov_b32 s0, exec_lo
	v_cmpx_gt_i32_e64 s9, v3
	s_cbranch_execz .LBB5_15
; %bb.14:
	s_ashr_i32 s11, s10, 31
	s_lshl_b64 s[2:3], s[10:11], 2
	v_add_co_u32 v1, vcc_lo, v1, s2
	v_add_co_ci_u32_e64 v2, null, s3, v2, vcc_lo
	global_load_dword v1, v[1:2], off
	s_waitcnt vmcnt(0)
	v_cmp_neq_f32_e32 vcc_lo, 0, v1
	v_add_co_ci_u32_e64 v5, null, 0, v5, vcc_lo
.LBB5_15:
	s_or_b32 exec_lo, exec_lo, s0
.LBB5_16:
	v_lshlrev_b32_e32 v1, 2, v0
	s_cmpk_lt_i32 s9, 0x100
	s_mov_b32 s0, -1
	v_cmp_eq_u32_e32 vcc_lo, 0, v0
	ds_write_b32 v1, v5
	s_waitcnt lgkmcnt(0)
	s_cbranch_scc0 .LBB5_27
; %bb.17:
	s_cmp_gt_i32 s9, 1
	s_mov_b32 s2, 1
	s_cselect_b32 s0, -1, 0
	s_barrier
	s_and_b32 s1, vcc_lo, s0
	buffer_gl0_inv
	s_and_saveexec_b32 s0, s1
	s_cbranch_execz .LBB5_26
; %bb.18:
	v_mov_b32_e32 v2, 0
	s_add_i32 s3, s9, -2
	s_add_i32 s1, s9, -1
	s_cmp_lt_u32 s3, 7
	ds_read_b32 v2, v2
	s_cbranch_scc1 .LBB5_22
; %bb.19:
	s_and_b32 s2, s1, -8
	s_mov_b32 s7, 0
	s_mov_b32 s3, 4
	.p2align	6
.LBB5_20:                               ; =>This Inner Loop Header: Depth=1
	v_mov_b32_e32 v9, s3
	s_mov_b32 s8, s7
	s_add_i32 s7, s7, 8
	s_add_i32 s3, s3, 32
	s_cmp_lg_u32 s2, s7
	ds_read2_b32 v[3:4], v9 offset1:1
	ds_read2_b32 v[5:6], v9 offset0:2 offset1:3
	ds_read2_b32 v[7:8], v9 offset0:4 offset1:5
	;; [unrolled: 1-line block ×3, first 2 shown]
	s_waitcnt lgkmcnt(3)
	v_add_nc_u32_e32 v2, v2, v3
	v_add_nc_u32_e32 v2, v2, v4
	s_waitcnt lgkmcnt(2)
	v_add_nc_u32_e32 v2, v2, v5
	v_add_nc_u32_e32 v2, v2, v6
	;; [unrolled: 3-line block ×4, first 2 shown]
	s_cbranch_scc1 .LBB5_20
; %bb.21:
	s_add_i32 s2, s8, 9
.LBB5_22:
	s_and_b32 s1, s1, 7
	s_cmp_eq_u32 s1, 0
	s_cbranch_scc1 .LBB5_25
; %bb.23:
	s_lshl_b32 s2, s2, 2
.LBB5_24:                               ; =>This Inner Loop Header: Depth=1
	v_mov_b32_e32 v3, s2
	s_add_i32 s1, s1, -1
	s_add_i32 s2, s2, 4
	s_cmp_lg_u32 s1, 0
	ds_read_b32 v3, v3
	s_waitcnt lgkmcnt(0)
	v_add_nc_u32_e32 v2, v2, v3
	s_cbranch_scc1 .LBB5_24
.LBB5_25:
	v_mov_b32_e32 v3, 0
	s_waitcnt lgkmcnt(0)
	ds_write_b32 v3, v2
.LBB5_26:
	s_or_b32 exec_lo, exec_lo, s0
	s_mov_b32 s0, 0
	s_waitcnt lgkmcnt(0)
	s_barrier
.LBB5_27:
	s_and_b32 vcc_lo, exec_lo, s0
	s_cbranch_vccz .LBB5_45
; %bb.28:
	s_mov_b32 s0, exec_lo
	s_barrier
	buffer_gl0_inv
	v_cmpx_gt_u32_e32 0x80, v0
	s_cbranch_execz .LBB5_30
; %bb.29:
	ds_read2st64_b32 v[2:3], v1 offset1:2
	s_waitcnt lgkmcnt(0)
	v_add_nc_u32_e32 v2, v2, v3
	ds_write_b32 v1, v2
.LBB5_30:
	s_or_b32 exec_lo, exec_lo, s0
	s_mov_b32 s0, exec_lo
	s_waitcnt lgkmcnt(0)
	s_barrier
	buffer_gl0_inv
	v_cmpx_gt_u32_e32 64, v0
	s_cbranch_execz .LBB5_32
; %bb.31:
	ds_read2st64_b32 v[2:3], v1 offset1:1
	s_waitcnt lgkmcnt(0)
	v_add_nc_u32_e32 v2, v2, v3
	ds_write_b32 v1, v2
.LBB5_32:
	s_or_b32 exec_lo, exec_lo, s0
	s_mov_b32 s0, exec_lo
	s_waitcnt lgkmcnt(0)
	s_barrier
	buffer_gl0_inv
	v_cmpx_gt_u32_e32 32, v0
	s_cbranch_execz .LBB5_34
; %bb.33:
	ds_read2_b32 v[2:3], v1 offset1:32
	s_waitcnt lgkmcnt(0)
	v_add_nc_u32_e32 v2, v2, v3
	ds_write_b32 v1, v2
.LBB5_34:
	s_or_b32 exec_lo, exec_lo, s0
	s_mov_b32 s0, exec_lo
	s_waitcnt lgkmcnt(0)
	s_barrier
	buffer_gl0_inv
	v_cmpx_gt_u32_e32 16, v0
	s_cbranch_execz .LBB5_36
; %bb.35:
	ds_read2_b32 v[2:3], v1 offset1:16
	s_waitcnt lgkmcnt(0)
	v_add_nc_u32_e32 v2, v2, v3
	ds_write_b32 v1, v2
.LBB5_36:
	;; [unrolled: 13-line block ×5, first 2 shown]
	s_or_b32 exec_lo, exec_lo, s0
	s_mov_b32 s0, exec_lo
	s_waitcnt lgkmcnt(0)
	s_barrier
	buffer_gl0_inv
	v_cmpx_eq_u32_e32 0, v0
	s_cbranch_execz .LBB5_44
; %bb.43:
	v_mov_b32_e32 v3, 0
	ds_read_b64 v[1:2], v3
	s_waitcnt lgkmcnt(0)
	v_add_nc_u32_e32 v1, v1, v2
	ds_write_b32 v3, v1
.LBB5_44:
	s_or_b32 exec_lo, exec_lo, s0
	s_waitcnt lgkmcnt(0)
	s_barrier
.LBB5_45:
	buffer_gl0_inv
	s_mov_b32 s0, exec_lo
	v_cmpx_eq_u32_e32 0, v0
	s_cbranch_execz .LBB5_47
; %bb.46:
	v_mov_b32_e32 v0, 0
	s_ashr_i32 s7, s6, 31
	s_lshl_b64 s[0:1], s[6:7], 2
	s_add_u32 s0, s4, s0
	ds_read_b32 v1, v0
	s_addc_u32 s1, s5, s1
	s_waitcnt lgkmcnt(0)
	global_store_dword v0, v1, s[0:1]
.LBB5_47:
	s_endpgm
	.section	.rodata,"a",@progbits
	.p2align	6, 0x0
	.amdhsa_kernel _ZN9rocsparseL14nnz_kernel_colILi256EiifEEv16rocsparse_order_T1_S2_PKT2_lPT0_
		.amdhsa_group_segment_fixed_size 1024
		.amdhsa_private_segment_fixed_size 0
		.amdhsa_kernarg_size 40
		.amdhsa_user_sgpr_count 6
		.amdhsa_user_sgpr_private_segment_buffer 1
		.amdhsa_user_sgpr_dispatch_ptr 0
		.amdhsa_user_sgpr_queue_ptr 0
		.amdhsa_user_sgpr_kernarg_segment_ptr 1
		.amdhsa_user_sgpr_dispatch_id 0
		.amdhsa_user_sgpr_flat_scratch_init 0
		.amdhsa_user_sgpr_private_segment_size 0
		.amdhsa_wavefront_size32 1
		.amdhsa_uses_dynamic_stack 0
		.amdhsa_system_sgpr_private_segment_wavefront_offset 0
		.amdhsa_system_sgpr_workgroup_id_x 1
		.amdhsa_system_sgpr_workgroup_id_y 0
		.amdhsa_system_sgpr_workgroup_id_z 0
		.amdhsa_system_sgpr_workgroup_info 0
		.amdhsa_system_vgpr_workitem_id 0
		.amdhsa_next_free_vgpr 11
		.amdhsa_next_free_sgpr 14
		.amdhsa_reserve_vcc 1
		.amdhsa_reserve_flat_scratch 0
		.amdhsa_float_round_mode_32 0
		.amdhsa_float_round_mode_16_64 0
		.amdhsa_float_denorm_mode_32 3
		.amdhsa_float_denorm_mode_16_64 3
		.amdhsa_dx10_clamp 1
		.amdhsa_ieee_mode 1
		.amdhsa_fp16_overflow 0
		.amdhsa_workgroup_processor_mode 1
		.amdhsa_memory_ordered 1
		.amdhsa_forward_progress 1
		.amdhsa_shared_vgpr_count 0
		.amdhsa_exception_fp_ieee_invalid_op 0
		.amdhsa_exception_fp_denorm_src 0
		.amdhsa_exception_fp_ieee_div_zero 0
		.amdhsa_exception_fp_ieee_overflow 0
		.amdhsa_exception_fp_ieee_underflow 0
		.amdhsa_exception_fp_ieee_inexact 0
		.amdhsa_exception_int_div_zero 0
	.end_amdhsa_kernel
	.section	.text._ZN9rocsparseL14nnz_kernel_colILi256EiifEEv16rocsparse_order_T1_S2_PKT2_lPT0_,"axG",@progbits,_ZN9rocsparseL14nnz_kernel_colILi256EiifEEv16rocsparse_order_T1_S2_PKT2_lPT0_,comdat
.Lfunc_end5:
	.size	_ZN9rocsparseL14nnz_kernel_colILi256EiifEEv16rocsparse_order_T1_S2_PKT2_lPT0_, .Lfunc_end5-_ZN9rocsparseL14nnz_kernel_colILi256EiifEEv16rocsparse_order_T1_S2_PKT2_lPT0_
                                        ; -- End function
	.set _ZN9rocsparseL14nnz_kernel_colILi256EiifEEv16rocsparse_order_T1_S2_PKT2_lPT0_.num_vgpr, 11
	.set _ZN9rocsparseL14nnz_kernel_colILi256EiifEEv16rocsparse_order_T1_S2_PKT2_lPT0_.num_agpr, 0
	.set _ZN9rocsparseL14nnz_kernel_colILi256EiifEEv16rocsparse_order_T1_S2_PKT2_lPT0_.numbered_sgpr, 14
	.set _ZN9rocsparseL14nnz_kernel_colILi256EiifEEv16rocsparse_order_T1_S2_PKT2_lPT0_.num_named_barrier, 0
	.set _ZN9rocsparseL14nnz_kernel_colILi256EiifEEv16rocsparse_order_T1_S2_PKT2_lPT0_.private_seg_size, 0
	.set _ZN9rocsparseL14nnz_kernel_colILi256EiifEEv16rocsparse_order_T1_S2_PKT2_lPT0_.uses_vcc, 1
	.set _ZN9rocsparseL14nnz_kernel_colILi256EiifEEv16rocsparse_order_T1_S2_PKT2_lPT0_.uses_flat_scratch, 0
	.set _ZN9rocsparseL14nnz_kernel_colILi256EiifEEv16rocsparse_order_T1_S2_PKT2_lPT0_.has_dyn_sized_stack, 0
	.set _ZN9rocsparseL14nnz_kernel_colILi256EiifEEv16rocsparse_order_T1_S2_PKT2_lPT0_.has_recursion, 0
	.set _ZN9rocsparseL14nnz_kernel_colILi256EiifEEv16rocsparse_order_T1_S2_PKT2_lPT0_.has_indirect_call, 0
	.section	.AMDGPU.csdata,"",@progbits
; Kernel info:
; codeLenInByte = 1492
; TotalNumSgprs: 16
; NumVgprs: 11
; ScratchSize: 0
; MemoryBound: 0
; FloatMode: 240
; IeeeMode: 1
; LDSByteSize: 1024 bytes/workgroup (compile time only)
; SGPRBlocks: 0
; VGPRBlocks: 1
; NumSGPRsForWavesPerEU: 16
; NumVGPRsForWavesPerEU: 11
; Occupancy: 16
; WaveLimiterHint : 0
; COMPUTE_PGM_RSRC2:SCRATCH_EN: 0
; COMPUTE_PGM_RSRC2:USER_SGPR: 6
; COMPUTE_PGM_RSRC2:TRAP_HANDLER: 0
; COMPUTE_PGM_RSRC2:TGID_X_EN: 1
; COMPUTE_PGM_RSRC2:TGID_Y_EN: 0
; COMPUTE_PGM_RSRC2:TGID_Z_EN: 0
; COMPUTE_PGM_RSRC2:TIDIG_COMP_CNT: 0
	.section	.text._ZN9rocsparseL14nnz_kernel_rowILi64ELi16EiidEEv16rocsparse_order_T2_S2_PKT3_lPT1_,"axG",@progbits,_ZN9rocsparseL14nnz_kernel_rowILi64ELi16EiidEEv16rocsparse_order_T2_S2_PKT3_lPT1_,comdat
	.globl	_ZN9rocsparseL14nnz_kernel_rowILi64ELi16EiidEEv16rocsparse_order_T2_S2_PKT3_lPT1_ ; -- Begin function _ZN9rocsparseL14nnz_kernel_rowILi64ELi16EiidEEv16rocsparse_order_T2_S2_PKT3_lPT1_
	.p2align	8
	.type	_ZN9rocsparseL14nnz_kernel_rowILi64ELi16EiidEEv16rocsparse_order_T2_S2_PKT3_lPT1_,@function
_ZN9rocsparseL14nnz_kernel_rowILi64ELi16EiidEEv16rocsparse_order_T2_S2_PKT3_lPT1_: ; @_ZN9rocsparseL14nnz_kernel_rowILi64ELi16EiidEEv16rocsparse_order_T2_S2_PKT3_lPT1_
; %bb.0:
	s_clause 0x2
	s_load_dword s0, s[4:5], 0x34
	s_load_dwordx8 s[8:15], s[4:5], 0x0
	s_load_dwordx2 s[16:17], s[4:5], 0x20
	s_lshl_b32 s5, s6, 8
	s_mov_b32 s19, 0
	s_mov_b32 s18, exec_lo
	s_waitcnt lgkmcnt(0)
	s_and_b32 s0, s0, 0xffff
	v_mad_u32_u24 v14, v1, s0, v0
	v_mov_b32_e32 v0, 0
	s_ashr_i32 s0, s10, 31
	s_lshr_b32 s0, s0, 26
	v_and_b32_e32 v15, 63, v14
	v_lshrrev_b32_e32 v2, 4, v14
	v_mov_b32_e32 v1, v0
	v_mov_b32_e32 v3, v0
	s_add_i32 s11, s10, s0
	v_or_b32_e32 v10, s5, v15
	v_and_b32_e32 v8, 0x7ffffc, v2
	v_mov_b32_e32 v2, v0
	s_andn2_b32 s11, s11, 63
	v_or_b32_e32 v18, 64, v10
	v_or_b32_e32 v17, 0x80, v10
	;; [unrolled: 1-line block ×3, first 2 shown]
	v_cmpx_gt_i32_e64 s11, v8
	s_cbranch_execz .LBB6_28
; %bb.1:
	v_lshrrev_b32_e32 v27, 6, v14
	v_add_nc_u32_e32 v1, s5, v15
	v_cmp_gt_i32_e64 s0, s9, v10
	v_cmp_gt_i32_e64 s1, s9, v18
	v_cmp_gt_i32_e64 s2, s9, v17
	v_lshlrev_b32_e32 v28, 2, v27
	v_ashrrev_i32_e32 v2, 31, v1
	v_mul_lo_u32 v9, s15, v1
	v_mad_u64_u32 v[3:4], null, s14, v1, 0
	v_or_b32_e32 v7, 3, v28
	v_mul_lo_u32 v12, s14, v2
	v_add_nc_u32_e32 v11, 64, v1
	v_or_b32_e32 v13, 2, v28
	v_lshlrev_b64 v[29:30], 3, v[1:2]
	v_mad_u64_u32 v[5:6], null, s14, v7, 0
	v_ashrrev_i32_e32 v23, 31, v11
	v_mad_u64_u32 v[21:22], null, s14, v13, 0
	v_add3_u32 v4, v4, v12, v9
	v_mul_lo_u32 v25, s15, v11
	v_mad_u64_u32 v[19:20], null, s14, v11, 0
	v_mov_b32_e32 v2, v6
	v_lshlrev_b32_e32 v31, 5, v27
	v_add_nc_u32_e32 v32, 0x80, v1
	v_cmp_gt_i32_e64 s3, s9, v16
	s_cmp_lg_u32 s8, 1
	v_mad_u64_u32 v[6:7], null, s15, v7, v[2:3]
	v_mul_lo_u32 v7, s14, v23
	v_lshlrev_b64 v[3:4], 3, v[3:4]
	v_mov_b32_e32 v2, v22
	v_mad_u64_u32 v[23:24], null, s14, v28, s[14:15]
	v_ashrrev_i32_e32 v33, 31, v32
	v_lshlrev_b64 v[5:6], 3, v[5:6]
	v_add_co_u32 v9, vcc_lo, v3, v31
	v_add3_u32 v20, v20, v7, v25
	v_mad_u64_u32 v[25:26], null, s15, v13, v[2:3]
	v_add_co_ci_u32_e64 v11, null, 0, v4, vcc_lo
	v_add_co_u32 v12, vcc_lo, v5, v29
	v_add_co_ci_u32_e64 v13, null, v6, v30, vcc_lo
	v_lshlrev_b64 v[2:3], 3, v[19:20]
	v_mad_u64_u32 v[5:6], null, s14, v32, 0
	v_mov_b32_e32 v22, v25
	v_mul_lo_u32 v7, s14, v33
	v_mov_b32_e32 v4, v24
	v_mul_lo_u32 v26, s15, v32
	v_add_co_u32 v19, vcc_lo, v2, v31
	v_add_co_ci_u32_e64 v20, null, 0, v3, vcc_lo
	v_mad_u64_u32 v[24:25], null, s15, v28, v[4:5]
	v_lshlrev_b64 v[3:4], 3, v[21:22]
	v_add_nc_u32_e32 v25, 0xc0, v1
	v_add3_u32 v6, v6, v7, v26
	v_mad_u64_u32 v[1:2], null, s14, v27, 0
	s_cselect_b32 s20, -1, 0
	v_add_co_u32 v21, vcc_lo, v3, v29
	v_ashrrev_i32_e32 v28, 31, v25
	v_add_co_ci_u32_e64 v22, null, v4, v30, vcc_lo
	v_lshlrev_b64 v[3:4], 3, v[5:6]
	v_mul_lo_u32 v32, s15, v25
	v_mul_lo_u32 v28, s14, v28
	v_mad_u64_u32 v[25:26], null, s14, v25, 0
	s_lshl_b64 s[6:7], s[14:15], 9
	v_mad_u64_u32 v[5:6], null, s15, v27, v[2:3]
	v_lshlrev_b64 v[6:7], 3, v[23:24]
	v_add_co_u32 v23, vcc_lo, v3, v31
	v_add3_u32 v26, v26, v28, v32
	v_add_co_ci_u32_e64 v24, null, 0, v4, vcc_lo
	v_mov_b32_e32 v2, v5
	v_lshlrev_b64 v[3:4], 3, v[25:26]
	v_add_co_u32 v25, vcc_lo, v6, v29
	v_lshlrev_b64 v[1:2], 5, v[1:2]
	v_add_co_ci_u32_e64 v26, null, v7, v30, vcc_lo
	v_add_co_u32 v27, vcc_lo, v3, v31
	v_add_co_ci_u32_e64 v28, null, 0, v4, vcc_lo
	v_add_co_u32 v29, vcc_lo, v1, v29
	v_add_co_ci_u32_e64 v30, null, v2, v30, vcc_lo
	v_mov_b32_e32 v1, v0
	v_mov_b32_e32 v2, v0
	v_mov_b32_e32 v3, v0
	s_branch .LBB6_4
.LBB6_2:                                ;   in Loop: Header=BB6_4 Depth=1
	v_mov_b32_e32 v0, v4
	v_mov_b32_e32 v1, v5
	;; [unrolled: 1-line block ×4, first 2 shown]
.LBB6_3:                                ;   in Loop: Header=BB6_4 Depth=1
	s_or_b32 exec_lo, exec_lo, s4
	v_add_co_u32 v9, vcc_lo, 0x200, v9
	v_add_co_ci_u32_e64 v11, null, 0, v11, vcc_lo
	v_add_co_u32 v12, vcc_lo, v12, s6
	v_add_co_ci_u32_e64 v13, null, s7, v13, vcc_lo
	;; [unrolled: 2-line block ×4, first 2 shown]
	v_add_co_u32 v23, vcc_lo, 0x200, v23
	v_add_nc_u32_e32 v8, 64, v8
	v_add_co_ci_u32_e64 v24, null, 0, v24, vcc_lo
	v_add_co_u32 v25, vcc_lo, v25, s6
	v_add_co_ci_u32_e64 v26, null, s7, v26, vcc_lo
	v_add_co_u32 v27, vcc_lo, 0x200, v27
	v_add_co_ci_u32_e64 v28, null, 0, v28, vcc_lo
	v_cmp_le_i32_e32 vcc_lo, s11, v8
	v_add_co_u32 v29, s4, v29, s6
	v_add_co_ci_u32_e64 v30, null, s7, v30, s4
	s_or_b32 s19, vcc_lo, s19
	s_andn2_b32 exec_lo, exec_lo, s19
	s_cbranch_execz .LBB6_27
.LBB6_4:                                ; =>This Inner Loop Header: Depth=1
	s_and_saveexec_b32 s4, s0
	s_cbranch_execnz .LBB6_8
; %bb.5:                                ;   in Loop: Header=BB6_4 Depth=1
	s_or_b32 exec_lo, exec_lo, s4
	s_and_saveexec_b32 s4, s1
	s_cbranch_execnz .LBB6_13
.LBB6_6:                                ;   in Loop: Header=BB6_4 Depth=1
	s_or_b32 exec_lo, exec_lo, s4
	s_and_saveexec_b32 s4, s2
	s_cbranch_execnz .LBB6_18
.LBB6_7:                                ;   in Loop: Header=BB6_4 Depth=1
	s_or_b32 exec_lo, exec_lo, s4
	s_and_saveexec_b32 s4, s3
	s_cbranch_execz .LBB6_3
	s_branch .LBB6_23
.LBB6_8:                                ;   in Loop: Header=BB6_4 Depth=1
	v_add_nc_u32_e32 v31, 1, v0
	s_andn2_b32 vcc_lo, exec_lo, s20
	s_mov_b32 s21, -1
                                        ; implicit-def: $vgpr4_vgpr5_vgpr6_vgpr7
	s_cbranch_vccnz .LBB6_10
; %bb.9:                                ;   in Loop: Header=BB6_4 Depth=1
	v_add_co_u32 v32, vcc_lo, s12, v9
	v_add_co_ci_u32_e64 v33, null, s13, v11, vcc_lo
	s_mov_b32 s21, 0
	s_clause 0x1
	global_load_dwordx4 v[4:7], v[32:33], off
	global_load_dwordx4 v[32:35], v[32:33], off offset:16
	s_waitcnt vmcnt(1)
	v_cmp_neq_f64_e32 vcc_lo, 0, v[4:5]
	v_cndmask_b32_e32 v4, v0, v31, vcc_lo
	v_cmp_neq_f64_e32 vcc_lo, 0, v[6:7]
	v_mov_b32_e32 v6, v2
	v_add_nc_u32_e32 v5, 1, v4
	v_cndmask_b32_e32 v4, v4, v5, vcc_lo
	s_waitcnt vmcnt(0)
	v_cmp_neq_f64_e32 vcc_lo, 0, v[32:33]
	v_add_nc_u32_e32 v5, 1, v4
	v_cndmask_b32_e32 v4, v4, v5, vcc_lo
	v_cmp_neq_f64_e32 vcc_lo, 0, v[34:35]
	v_mov_b32_e32 v5, v1
	v_add_nc_u32_e32 v7, 1, v4
	v_cndmask_b32_e32 v4, v4, v7, vcc_lo
	v_mov_b32_e32 v7, v3
.LBB6_10:                               ;   in Loop: Header=BB6_4 Depth=1
	s_andn2_b32 vcc_lo, exec_lo, s21
	s_cbranch_vccnz .LBB6_12
; %bb.11:                               ;   in Loop: Header=BB6_4 Depth=1
	v_add_co_u32 v4, vcc_lo, s12, v29
	v_add_co_ci_u32_e64 v5, null, s13, v30, vcc_lo
	v_add_co_u32 v6, vcc_lo, s12, v25
	v_add_co_ci_u32_e64 v7, null, s13, v26, vcc_lo
	global_load_dwordx2 v[4:5], v[4:5], off
	v_add_co_u32 v32, vcc_lo, s12, v21
	global_load_dwordx2 v[6:7], v[6:7], off
	v_add_co_ci_u32_e64 v33, null, s13, v22, vcc_lo
	v_add_co_u32 v34, vcc_lo, s12, v12
	v_add_co_ci_u32_e64 v35, null, s13, v13, vcc_lo
	s_clause 0x1
	global_load_dwordx2 v[32:33], v[32:33], off
	global_load_dwordx2 v[34:35], v[34:35], off
	s_waitcnt vmcnt(3)
	v_cmp_neq_f64_e32 vcc_lo, 0, v[4:5]
	v_cndmask_b32_e32 v0, v0, v31, vcc_lo
	s_waitcnt vmcnt(2)
	v_cmp_neq_f64_e32 vcc_lo, 0, v[6:7]
	v_add_nc_u32_e32 v4, 1, v0
	v_cndmask_b32_e32 v0, v0, v4, vcc_lo
	s_waitcnt vmcnt(1)
	v_cmp_neq_f64_e32 vcc_lo, 0, v[32:33]
	v_add_nc_u32_e32 v4, 1, v0
	;; [unrolled: 4-line block ×3, first 2 shown]
	v_cndmask_b32_e32 v0, v0, v4, vcc_lo
	v_mov_b32_e32 v7, v3
	v_mov_b32_e32 v6, v2
	;; [unrolled: 1-line block ×4, first 2 shown]
.LBB6_12:                               ;   in Loop: Header=BB6_4 Depth=1
	v_mov_b32_e32 v0, v4
	v_mov_b32_e32 v1, v5
	;; [unrolled: 1-line block ×4, first 2 shown]
	s_or_b32 exec_lo, exec_lo, s4
	s_and_saveexec_b32 s4, s1
	s_cbranch_execz .LBB6_6
.LBB6_13:                               ;   in Loop: Header=BB6_4 Depth=1
	v_add_nc_u32_e32 v31, 1, v1
	s_andn2_b32 vcc_lo, exec_lo, s20
	s_mov_b32 s21, -1
                                        ; implicit-def: $vgpr4_vgpr5_vgpr6_vgpr7
	s_cbranch_vccnz .LBB6_15
; %bb.14:                               ;   in Loop: Header=BB6_4 Depth=1
	v_add_co_u32 v32, vcc_lo, s12, v19
	v_add_co_ci_u32_e64 v33, null, s13, v20, vcc_lo
	s_mov_b32 s21, 0
	s_clause 0x1
	global_load_dwordx4 v[4:7], v[32:33], off
	global_load_dwordx4 v[32:35], v[32:33], off offset:16
	s_waitcnt vmcnt(1)
	v_cmp_neq_f64_e32 vcc_lo, 0, v[4:5]
	v_cndmask_b32_e32 v4, v1, v31, vcc_lo
	v_cmp_neq_f64_e32 vcc_lo, 0, v[6:7]
	v_mov_b32_e32 v6, v2
	v_add_nc_u32_e32 v5, 1, v4
	v_cndmask_b32_e32 v4, v4, v5, vcc_lo
	s_waitcnt vmcnt(0)
	v_cmp_neq_f64_e32 vcc_lo, 0, v[32:33]
	v_add_nc_u32_e32 v5, 1, v4
	v_cndmask_b32_e32 v5, v4, v5, vcc_lo
	v_cmp_neq_f64_e32 vcc_lo, 0, v[34:35]
	v_mov_b32_e32 v4, v0
	v_add_nc_u32_e32 v7, 1, v5
	v_cndmask_b32_e32 v5, v5, v7, vcc_lo
	v_mov_b32_e32 v7, v3
.LBB6_15:                               ;   in Loop: Header=BB6_4 Depth=1
	s_andn2_b32 vcc_lo, exec_lo, s21
	s_cbranch_vccnz .LBB6_17
; %bb.16:                               ;   in Loop: Header=BB6_4 Depth=1
	v_add_co_u32 v4, vcc_lo, s12, v29
	v_add_co_ci_u32_e64 v5, null, s13, v30, vcc_lo
	v_add_co_u32 v6, vcc_lo, s12, v25
	v_add_co_ci_u32_e64 v7, null, s13, v26, vcc_lo
	global_load_dwordx2 v[4:5], v[4:5], off offset:512
	v_add_co_u32 v32, vcc_lo, s12, v21
	global_load_dwordx2 v[6:7], v[6:7], off offset:512
	v_add_co_ci_u32_e64 v33, null, s13, v22, vcc_lo
	v_add_co_u32 v34, vcc_lo, s12, v12
	v_add_co_ci_u32_e64 v35, null, s13, v13, vcc_lo
	s_clause 0x1
	global_load_dwordx2 v[32:33], v[32:33], off offset:512
	global_load_dwordx2 v[34:35], v[34:35], off offset:512
	s_waitcnt vmcnt(3)
	v_cmp_neq_f64_e32 vcc_lo, 0, v[4:5]
	v_cndmask_b32_e32 v1, v1, v31, vcc_lo
	s_waitcnt vmcnt(2)
	v_cmp_neq_f64_e32 vcc_lo, 0, v[6:7]
	v_add_nc_u32_e32 v4, 1, v1
	v_cndmask_b32_e32 v1, v1, v4, vcc_lo
	s_waitcnt vmcnt(1)
	v_cmp_neq_f64_e32 vcc_lo, 0, v[32:33]
	v_add_nc_u32_e32 v4, 1, v1
	;; [unrolled: 4-line block ×3, first 2 shown]
	v_cndmask_b32_e32 v1, v1, v4, vcc_lo
	v_mov_b32_e32 v7, v3
	v_mov_b32_e32 v6, v2
	;; [unrolled: 1-line block ×4, first 2 shown]
.LBB6_17:                               ;   in Loop: Header=BB6_4 Depth=1
	v_mov_b32_e32 v0, v4
	v_mov_b32_e32 v1, v5
	;; [unrolled: 1-line block ×4, first 2 shown]
	s_or_b32 exec_lo, exec_lo, s4
	s_and_saveexec_b32 s4, s2
	s_cbranch_execz .LBB6_7
.LBB6_18:                               ;   in Loop: Header=BB6_4 Depth=1
	v_add_nc_u32_e32 v31, 1, v2
	s_andn2_b32 vcc_lo, exec_lo, s20
	s_mov_b32 s21, -1
                                        ; implicit-def: $vgpr4_vgpr5_vgpr6_vgpr7
	s_cbranch_vccnz .LBB6_20
; %bb.19:                               ;   in Loop: Header=BB6_4 Depth=1
	v_add_co_u32 v32, vcc_lo, s12, v23
	v_add_co_ci_u32_e64 v33, null, s13, v24, vcc_lo
	s_mov_b32 s21, 0
	s_clause 0x1
	global_load_dwordx4 v[4:7], v[32:33], off
	global_load_dwordx4 v[32:35], v[32:33], off offset:16
	s_waitcnt vmcnt(1)
	v_cmp_neq_f64_e32 vcc_lo, 0, v[4:5]
	v_cndmask_b32_e32 v4, v2, v31, vcc_lo
	v_cmp_neq_f64_e32 vcc_lo, 0, v[6:7]
	v_add_nc_u32_e32 v5, 1, v4
	v_cndmask_b32_e32 v4, v4, v5, vcc_lo
	s_waitcnt vmcnt(0)
	v_cmp_neq_f64_e32 vcc_lo, 0, v[32:33]
	v_add_nc_u32_e32 v5, 1, v4
	v_cndmask_b32_e32 v6, v4, v5, vcc_lo
	v_cmp_neq_f64_e32 vcc_lo, 0, v[34:35]
	v_mov_b32_e32 v4, v0
	v_mov_b32_e32 v5, v1
	v_add_nc_u32_e32 v7, 1, v6
	v_cndmask_b32_e32 v6, v6, v7, vcc_lo
	v_mov_b32_e32 v7, v3
.LBB6_20:                               ;   in Loop: Header=BB6_4 Depth=1
	s_andn2_b32 vcc_lo, exec_lo, s21
	s_cbranch_vccnz .LBB6_22
; %bb.21:                               ;   in Loop: Header=BB6_4 Depth=1
	v_add_co_u32 v4, vcc_lo, s12, v29
	v_add_co_ci_u32_e64 v5, null, s13, v30, vcc_lo
	v_add_co_u32 v6, vcc_lo, s12, v25
	v_add_co_ci_u32_e64 v7, null, s13, v26, vcc_lo
	global_load_dwordx2 v[4:5], v[4:5], off offset:1024
	v_add_co_u32 v32, vcc_lo, s12, v21
	global_load_dwordx2 v[6:7], v[6:7], off offset:1024
	v_add_co_ci_u32_e64 v33, null, s13, v22, vcc_lo
	v_add_co_u32 v34, vcc_lo, s12, v12
	v_add_co_ci_u32_e64 v35, null, s13, v13, vcc_lo
	s_clause 0x1
	global_load_dwordx2 v[32:33], v[32:33], off offset:1024
	global_load_dwordx2 v[34:35], v[34:35], off offset:1024
	s_waitcnt vmcnt(3)
	v_cmp_neq_f64_e32 vcc_lo, 0, v[4:5]
	v_cndmask_b32_e32 v2, v2, v31, vcc_lo
	s_waitcnt vmcnt(2)
	v_cmp_neq_f64_e32 vcc_lo, 0, v[6:7]
	v_add_nc_u32_e32 v4, 1, v2
	v_cndmask_b32_e32 v2, v2, v4, vcc_lo
	s_waitcnt vmcnt(1)
	v_cmp_neq_f64_e32 vcc_lo, 0, v[32:33]
	v_add_nc_u32_e32 v4, 1, v2
	;; [unrolled: 4-line block ×3, first 2 shown]
	v_cndmask_b32_e32 v2, v2, v4, vcc_lo
	v_mov_b32_e32 v7, v3
	v_mov_b32_e32 v5, v1
	;; [unrolled: 1-line block ×4, first 2 shown]
.LBB6_22:                               ;   in Loop: Header=BB6_4 Depth=1
	v_mov_b32_e32 v0, v4
	v_mov_b32_e32 v1, v5
	;; [unrolled: 1-line block ×4, first 2 shown]
	s_or_b32 exec_lo, exec_lo, s4
	s_and_saveexec_b32 s4, s3
	s_cbranch_execz .LBB6_3
.LBB6_23:                               ;   in Loop: Header=BB6_4 Depth=1
	v_add_nc_u32_e32 v31, 1, v3
	s_andn2_b32 vcc_lo, exec_lo, s20
	s_mov_b32 s21, -1
                                        ; implicit-def: $vgpr4_vgpr5_vgpr6_vgpr7
	s_cbranch_vccnz .LBB6_25
; %bb.24:                               ;   in Loop: Header=BB6_4 Depth=1
	v_add_co_u32 v32, vcc_lo, s12, v27
	v_add_co_ci_u32_e64 v33, null, s13, v28, vcc_lo
	s_mov_b32 s21, 0
	s_clause 0x1
	global_load_dwordx4 v[4:7], v[32:33], off
	global_load_dwordx4 v[32:35], v[32:33], off offset:16
	s_waitcnt vmcnt(1)
	v_cmp_neq_f64_e32 vcc_lo, 0, v[4:5]
	v_cndmask_b32_e32 v4, v3, v31, vcc_lo
	v_cmp_neq_f64_e32 vcc_lo, 0, v[6:7]
	v_add_nc_u32_e32 v5, 1, v4
	v_cndmask_b32_e32 v4, v4, v5, vcc_lo
	s_waitcnt vmcnt(0)
	v_cmp_neq_f64_e32 vcc_lo, 0, v[32:33]
	v_add_nc_u32_e32 v5, 1, v4
	v_cndmask_b32_e32 v6, v4, v5, vcc_lo
	v_cmp_neq_f64_e32 vcc_lo, 0, v[34:35]
	v_mov_b32_e32 v4, v0
	v_mov_b32_e32 v5, v1
	v_add_nc_u32_e32 v7, 1, v6
	v_cndmask_b32_e32 v7, v6, v7, vcc_lo
	v_mov_b32_e32 v6, v2
.LBB6_25:                               ;   in Loop: Header=BB6_4 Depth=1
	s_andn2_b32 vcc_lo, exec_lo, s21
	s_cbranch_vccnz .LBB6_2
; %bb.26:                               ;   in Loop: Header=BB6_4 Depth=1
	v_add_co_u32 v4, vcc_lo, s12, v29
	v_add_co_ci_u32_e64 v5, null, s13, v30, vcc_lo
	v_add_co_u32 v6, vcc_lo, s12, v25
	v_add_co_ci_u32_e64 v7, null, s13, v26, vcc_lo
	global_load_dwordx2 v[4:5], v[4:5], off offset:1536
	v_add_co_u32 v32, vcc_lo, s12, v21
	global_load_dwordx2 v[6:7], v[6:7], off offset:1536
	v_add_co_ci_u32_e64 v33, null, s13, v22, vcc_lo
	v_add_co_u32 v34, vcc_lo, s12, v12
	v_add_co_ci_u32_e64 v35, null, s13, v13, vcc_lo
	s_clause 0x1
	global_load_dwordx2 v[32:33], v[32:33], off offset:1536
	global_load_dwordx2 v[34:35], v[34:35], off offset:1536
	s_waitcnt vmcnt(3)
	v_cmp_neq_f64_e32 vcc_lo, 0, v[4:5]
	v_cndmask_b32_e32 v3, v3, v31, vcc_lo
	s_waitcnt vmcnt(2)
	v_cmp_neq_f64_e32 vcc_lo, 0, v[6:7]
	v_add_nc_u32_e32 v4, 1, v3
	v_cndmask_b32_e32 v3, v3, v4, vcc_lo
	s_waitcnt vmcnt(1)
	v_cmp_neq_f64_e32 vcc_lo, 0, v[32:33]
	v_add_nc_u32_e32 v4, 1, v3
	;; [unrolled: 4-line block ×3, first 2 shown]
	v_cndmask_b32_e32 v3, v3, v4, vcc_lo
	v_mov_b32_e32 v7, v3
	v_mov_b32_e32 v6, v2
	;; [unrolled: 1-line block ×4, first 2 shown]
	s_branch .LBB6_2
.LBB6_27:
	s_or_b32 exec_lo, exec_lo, s19
.LBB6_28:
	s_or_b32 exec_lo, exec_lo, s18
	s_sub_i32 s0, s10, s11
	s_cmp_lt_i32 s0, 1
	s_cbranch_scc1 .LBB6_134
; %bb.29:
	v_mov_b32_e32 v9, 0
	v_ashrrev_i32_e32 v11, 31, v10
	s_cmp_lg_u32 s8, 1
	s_cselect_b32 s1, -1, 0
	v_lshlrev_b64 v[4:5], 3, v[8:9]
	v_add_co_u32 v9, s0, s12, v4
	v_add_co_ci_u32_e64 v19, null, s13, v5, s0
	s_mov_b32 s0, exec_lo
	v_cmpx_gt_i32_e64 s9, v10
	s_cbranch_execnz .LBB6_33
; %bb.30:
	s_or_b32 exec_lo, exec_lo, s0
	s_mov_b32 s0, exec_lo
	v_cmpx_gt_i32_e64 s9, v18
	s_cbranch_execnz .LBB6_58
.LBB6_31:
	s_or_b32 exec_lo, exec_lo, s0
	s_mov_b32 s0, exec_lo
	v_cmpx_gt_i32_e64 s9, v17
	s_cbranch_execnz .LBB6_83
.LBB6_32:
	s_or_b32 exec_lo, exec_lo, s0
	s_mov_b32 s2, exec_lo
	v_cmpx_gt_i32_e64 s9, v16
	s_cbranch_execnz .LBB6_108
	s_branch .LBB6_133
.LBB6_33:
	v_mul_lo_u32 v6, s15, v10
	v_mul_lo_u32 v7, s14, v11
	v_mad_u64_u32 v[4:5], null, s14, v10, 0
	s_mov_b32 s2, exec_lo
	v_add3_u32 v5, v5, v7, v6
	v_lshlrev_b64 v[6:7], 3, v[10:11]
	v_lshlrev_b64 v[4:5], 3, v[4:5]
	v_add_co_u32 v20, vcc_lo, s12, v6
	v_add_co_ci_u32_e64 v21, null, s13, v7, vcc_lo
	v_add_co_u32 v12, vcc_lo, v9, v4
	v_add_co_ci_u32_e64 v13, null, v19, v5, vcc_lo
	v_cmpx_gt_i32_e64 s10, v8
	s_cbranch_execz .LBB6_39
; %bb.34:
	s_and_b32 vcc_lo, exec_lo, s1
	s_cbranch_vccz .LBB6_36
; %bb.35:
	global_load_dwordx2 v[4:5], v[12:13], off
	s_waitcnt vmcnt(0)
	v_cmp_neq_f64_e32 vcc_lo, 0, v[4:5]
	v_mov_b32_e32 v7, v3
	v_mov_b32_e32 v4, v0
	;; [unrolled: 1-line block ×4, first 2 shown]
	v_add_co_ci_u32_e64 v22, null, 0, v0, vcc_lo
	v_mov_b32_e32 v4, v22
	s_cbranch_execz .LBB6_37
	s_branch .LBB6_38
.LBB6_36:
                                        ; implicit-def: $vgpr4_vgpr5_vgpr6_vgpr7
.LBB6_37:
	v_mad_u64_u32 v[4:5], null, s14, v8, 0
	v_mad_u64_u32 v[5:6], null, s15, v8, v[5:6]
	v_lshlrev_b64 v[4:5], 3, v[4:5]
	v_add_co_u32 v4, vcc_lo, v20, v4
	v_add_co_ci_u32_e64 v5, null, v21, v5, vcc_lo
	global_load_dwordx2 v[4:5], v[4:5], off
	s_waitcnt vmcnt(0)
	v_cmp_neq_f64_e32 vcc_lo, 0, v[4:5]
	v_add_co_ci_u32_e64 v0, null, 0, v0, vcc_lo
	v_mov_b32_e32 v7, v3
	v_mov_b32_e32 v6, v2
	;; [unrolled: 1-line block ×4, first 2 shown]
.LBB6_38:
	v_mov_b32_e32 v0, v4
	v_mov_b32_e32 v1, v5
	;; [unrolled: 1-line block ×4, first 2 shown]
.LBB6_39:
	s_or_b32 exec_lo, exec_lo, s2
	v_or_b32_e32 v22, 1, v8
	s_mov_b32 s2, exec_lo
	v_cmpx_gt_i32_e64 s10, v22
	s_cbranch_execz .LBB6_45
; %bb.40:
	s_andn2_b32 vcc_lo, exec_lo, s1
	s_cbranch_vccnz .LBB6_42
; %bb.41:
	global_load_dwordx2 v[4:5], v[12:13], off offset:8
	s_waitcnt vmcnt(0)
	v_cmp_neq_f64_e32 vcc_lo, 0, v[4:5]
	v_mov_b32_e32 v7, v3
	v_mov_b32_e32 v4, v0
	v_mov_b32_e32 v6, v2
	v_mov_b32_e32 v5, v1
	v_add_co_ci_u32_e64 v23, null, 0, v0, vcc_lo
	v_mov_b32_e32 v4, v23
	s_cbranch_execz .LBB6_43
	s_branch .LBB6_44
.LBB6_42:
                                        ; implicit-def: $vgpr4_vgpr5_vgpr6_vgpr7
.LBB6_43:
	v_mad_u64_u32 v[4:5], null, s14, v22, 0
	v_mad_u64_u32 v[5:6], null, s15, v22, v[5:6]
	v_lshlrev_b64 v[4:5], 3, v[4:5]
	v_add_co_u32 v4, vcc_lo, v20, v4
	v_add_co_ci_u32_e64 v5, null, v21, v5, vcc_lo
	global_load_dwordx2 v[4:5], v[4:5], off
	s_waitcnt vmcnt(0)
	v_cmp_neq_f64_e32 vcc_lo, 0, v[4:5]
	v_add_co_ci_u32_e64 v0, null, 0, v0, vcc_lo
	v_mov_b32_e32 v7, v3
	v_mov_b32_e32 v6, v2
	v_mov_b32_e32 v5, v1
	v_mov_b32_e32 v4, v0
.LBB6_44:
	v_mov_b32_e32 v0, v4
	v_mov_b32_e32 v1, v5
	v_mov_b32_e32 v2, v6
	v_mov_b32_e32 v3, v7
.LBB6_45:
	s_or_b32 exec_lo, exec_lo, s2
	v_or_b32_e32 v22, 2, v8
	s_mov_b32 s2, exec_lo
	v_cmpx_gt_i32_e64 s10, v22
	s_cbranch_execz .LBB6_51
; %bb.46:
	s_andn2_b32 vcc_lo, exec_lo, s1
	s_cbranch_vccnz .LBB6_48
; %bb.47:
	global_load_dwordx2 v[4:5], v[12:13], off offset:16
	s_waitcnt vmcnt(0)
	v_cmp_neq_f64_e32 vcc_lo, 0, v[4:5]
	v_mov_b32_e32 v7, v3
	v_mov_b32_e32 v4, v0
	v_mov_b32_e32 v6, v2
	v_mov_b32_e32 v5, v1
	v_add_co_ci_u32_e64 v23, null, 0, v0, vcc_lo
	v_mov_b32_e32 v4, v23
	s_cbranch_execz .LBB6_49
	s_branch .LBB6_50
.LBB6_48:
                                        ; implicit-def: $vgpr4_vgpr5_vgpr6_vgpr7
.LBB6_49:
	v_mad_u64_u32 v[4:5], null, s14, v22, 0
	v_mad_u64_u32 v[5:6], null, s15, v22, v[5:6]
	v_lshlrev_b64 v[4:5], 3, v[4:5]
	v_add_co_u32 v4, vcc_lo, v20, v4
	v_add_co_ci_u32_e64 v5, null, v21, v5, vcc_lo
	global_load_dwordx2 v[4:5], v[4:5], off
	s_waitcnt vmcnt(0)
	v_cmp_neq_f64_e32 vcc_lo, 0, v[4:5]
	v_add_co_ci_u32_e64 v0, null, 0, v0, vcc_lo
	v_mov_b32_e32 v7, v3
	v_mov_b32_e32 v6, v2
	v_mov_b32_e32 v5, v1
	v_mov_b32_e32 v4, v0
.LBB6_50:
	v_mov_b32_e32 v0, v4
	v_mov_b32_e32 v1, v5
	v_mov_b32_e32 v2, v6
	v_mov_b32_e32 v3, v7
.LBB6_51:
	;; [unrolled: 42-line block ×3, first 2 shown]
	s_or_b32 exec_lo, exec_lo, s2
	s_or_b32 exec_lo, exec_lo, s0
	s_mov_b32 s0, exec_lo
	v_cmpx_gt_i32_e64 s9, v18
	s_cbranch_execz .LBB6_31
.LBB6_58:
	v_ashrrev_i32_e32 v6, 31, v18
	v_mul_lo_u32 v7, s15, v18
	v_mad_u64_u32 v[4:5], null, s14, v18, 0
	s_mov_b32 s2, exec_lo
	v_mul_lo_u32 v6, s14, v6
	v_add3_u32 v5, v5, v6, v7
	v_lshlrev_b64 v[6:7], 3, v[10:11]
	v_lshlrev_b64 v[4:5], 3, v[4:5]
	v_add_co_u32 v18, vcc_lo, s12, v6
	v_add_co_ci_u32_e64 v20, null, s13, v7, vcc_lo
	v_add_co_u32 v12, vcc_lo, v9, v4
	v_add_co_ci_u32_e64 v13, null, v19, v5, vcc_lo
	v_cmpx_gt_i32_e64 s10, v8
	s_cbranch_execz .LBB6_64
; %bb.59:
	s_andn2_b32 vcc_lo, exec_lo, s1
	s_cbranch_vccnz .LBB6_61
; %bb.60:
	global_load_dwordx2 v[4:5], v[12:13], off
	s_waitcnt vmcnt(0)
	v_cmp_neq_f64_e32 vcc_lo, 0, v[4:5]
	v_mov_b32_e32 v7, v3
	v_mov_b32_e32 v5, v1
	;; [unrolled: 1-line block ×4, first 2 shown]
	v_add_co_ci_u32_e64 v21, null, 0, v1, vcc_lo
	v_mov_b32_e32 v5, v21
	s_cbranch_execz .LBB6_62
	s_branch .LBB6_63
.LBB6_61:
                                        ; implicit-def: $vgpr4_vgpr5_vgpr6_vgpr7
.LBB6_62:
	v_mad_u64_u32 v[4:5], null, s14, v8, 0
	v_mad_u64_u32 v[5:6], null, s15, v8, v[5:6]
	v_lshlrev_b64 v[4:5], 3, v[4:5]
	v_add_co_u32 v4, vcc_lo, v18, v4
	v_add_co_ci_u32_e64 v5, null, v20, v5, vcc_lo
	global_load_dwordx2 v[4:5], v[4:5], off offset:512
	s_waitcnt vmcnt(0)
	v_cmp_neq_f64_e32 vcc_lo, 0, v[4:5]
	v_add_co_ci_u32_e64 v1, null, 0, v1, vcc_lo
	v_mov_b32_e32 v7, v3
	v_mov_b32_e32 v6, v2
	v_mov_b32_e32 v4, v0
	v_mov_b32_e32 v5, v1
.LBB6_63:
	v_mov_b32_e32 v0, v4
	v_mov_b32_e32 v1, v5
	;; [unrolled: 1-line block ×4, first 2 shown]
.LBB6_64:
	s_or_b32 exec_lo, exec_lo, s2
	v_or_b32_e32 v21, 1, v8
	s_mov_b32 s2, exec_lo
	v_cmpx_gt_i32_e64 s10, v21
	s_cbranch_execz .LBB6_70
; %bb.65:
	s_andn2_b32 vcc_lo, exec_lo, s1
	s_cbranch_vccnz .LBB6_67
; %bb.66:
	global_load_dwordx2 v[4:5], v[12:13], off offset:8
	s_waitcnt vmcnt(0)
	v_cmp_neq_f64_e32 vcc_lo, 0, v[4:5]
	v_mov_b32_e32 v7, v3
	v_mov_b32_e32 v5, v1
	v_mov_b32_e32 v6, v2
	v_mov_b32_e32 v4, v0
	v_add_co_ci_u32_e64 v22, null, 0, v1, vcc_lo
	v_mov_b32_e32 v5, v22
	s_cbranch_execz .LBB6_68
	s_branch .LBB6_69
.LBB6_67:
                                        ; implicit-def: $vgpr4_vgpr5_vgpr6_vgpr7
.LBB6_68:
	v_mad_u64_u32 v[4:5], null, s14, v21, 0
	v_mad_u64_u32 v[5:6], null, s15, v21, v[5:6]
	v_lshlrev_b64 v[4:5], 3, v[4:5]
	v_add_co_u32 v4, vcc_lo, v18, v4
	v_add_co_ci_u32_e64 v5, null, v20, v5, vcc_lo
	global_load_dwordx2 v[4:5], v[4:5], off offset:512
	s_waitcnt vmcnt(0)
	v_cmp_neq_f64_e32 vcc_lo, 0, v[4:5]
	v_add_co_ci_u32_e64 v1, null, 0, v1, vcc_lo
	v_mov_b32_e32 v7, v3
	v_mov_b32_e32 v6, v2
	v_mov_b32_e32 v4, v0
	v_mov_b32_e32 v5, v1
.LBB6_69:
	v_mov_b32_e32 v0, v4
	v_mov_b32_e32 v1, v5
	v_mov_b32_e32 v2, v6
	v_mov_b32_e32 v3, v7
.LBB6_70:
	s_or_b32 exec_lo, exec_lo, s2
	v_or_b32_e32 v21, 2, v8
	s_mov_b32 s2, exec_lo
	v_cmpx_gt_i32_e64 s10, v21
	s_cbranch_execz .LBB6_76
; %bb.71:
	s_andn2_b32 vcc_lo, exec_lo, s1
	s_cbranch_vccnz .LBB6_73
; %bb.72:
	global_load_dwordx2 v[4:5], v[12:13], off offset:16
	s_waitcnt vmcnt(0)
	v_cmp_neq_f64_e32 vcc_lo, 0, v[4:5]
	v_mov_b32_e32 v7, v3
	v_mov_b32_e32 v5, v1
	v_mov_b32_e32 v6, v2
	v_mov_b32_e32 v4, v0
	v_add_co_ci_u32_e64 v22, null, 0, v1, vcc_lo
	v_mov_b32_e32 v5, v22
	s_cbranch_execz .LBB6_74
	s_branch .LBB6_75
.LBB6_73:
                                        ; implicit-def: $vgpr4_vgpr5_vgpr6_vgpr7
.LBB6_74:
	v_mad_u64_u32 v[4:5], null, s14, v21, 0
	v_mad_u64_u32 v[5:6], null, s15, v21, v[5:6]
	v_lshlrev_b64 v[4:5], 3, v[4:5]
	v_add_co_u32 v4, vcc_lo, v18, v4
	v_add_co_ci_u32_e64 v5, null, v20, v5, vcc_lo
	global_load_dwordx2 v[4:5], v[4:5], off offset:512
	s_waitcnt vmcnt(0)
	v_cmp_neq_f64_e32 vcc_lo, 0, v[4:5]
	v_add_co_ci_u32_e64 v1, null, 0, v1, vcc_lo
	v_mov_b32_e32 v7, v3
	v_mov_b32_e32 v6, v2
	v_mov_b32_e32 v4, v0
	v_mov_b32_e32 v5, v1
.LBB6_75:
	v_mov_b32_e32 v0, v4
	v_mov_b32_e32 v1, v5
	v_mov_b32_e32 v2, v6
	v_mov_b32_e32 v3, v7
.LBB6_76:
	;; [unrolled: 42-line block ×3, first 2 shown]
	s_or_b32 exec_lo, exec_lo, s2
	s_or_b32 exec_lo, exec_lo, s0
	s_mov_b32 s0, exec_lo
	v_cmpx_gt_i32_e64 s9, v17
	s_cbranch_execz .LBB6_32
.LBB6_83:
	v_ashrrev_i32_e32 v6, 31, v17
	v_mul_lo_u32 v7, s15, v17
	v_mad_u64_u32 v[4:5], null, s14, v17, 0
	s_mov_b32 s2, exec_lo
	v_mul_lo_u32 v6, s14, v6
	v_add3_u32 v5, v5, v6, v7
	v_lshlrev_b64 v[6:7], 3, v[10:11]
	v_lshlrev_b64 v[4:5], 3, v[4:5]
	v_add_co_u32 v17, vcc_lo, s12, v6
	v_add_co_ci_u32_e64 v18, null, s13, v7, vcc_lo
	v_add_co_u32 v12, vcc_lo, v9, v4
	v_add_co_ci_u32_e64 v13, null, v19, v5, vcc_lo
	v_cmpx_gt_i32_e64 s10, v8
	s_cbranch_execz .LBB6_89
; %bb.84:
	s_andn2_b32 vcc_lo, exec_lo, s1
	s_cbranch_vccnz .LBB6_86
; %bb.85:
	global_load_dwordx2 v[4:5], v[12:13], off
	s_waitcnt vmcnt(0)
	v_cmp_neq_f64_e32 vcc_lo, 0, v[4:5]
	v_mov_b32_e32 v7, v3
	v_mov_b32_e32 v6, v2
	;; [unrolled: 1-line block ×4, first 2 shown]
	v_add_co_ci_u32_e64 v20, null, 0, v2, vcc_lo
	v_mov_b32_e32 v6, v20
	s_cbranch_execz .LBB6_87
	s_branch .LBB6_88
.LBB6_86:
                                        ; implicit-def: $vgpr4_vgpr5_vgpr6_vgpr7
.LBB6_87:
	v_mad_u64_u32 v[4:5], null, s14, v8, 0
	v_mad_u64_u32 v[5:6], null, s15, v8, v[5:6]
	v_lshlrev_b64 v[4:5], 3, v[4:5]
	v_add_co_u32 v4, vcc_lo, v17, v4
	v_add_co_ci_u32_e64 v5, null, v18, v5, vcc_lo
	global_load_dwordx2 v[4:5], v[4:5], off offset:1024
	s_waitcnt vmcnt(0)
	v_cmp_neq_f64_e32 vcc_lo, 0, v[4:5]
	v_add_co_ci_u32_e64 v2, null, 0, v2, vcc_lo
	v_mov_b32_e32 v7, v3
	v_mov_b32_e32 v5, v1
	;; [unrolled: 1-line block ×4, first 2 shown]
.LBB6_88:
	v_mov_b32_e32 v0, v4
	v_mov_b32_e32 v1, v5
	;; [unrolled: 1-line block ×4, first 2 shown]
.LBB6_89:
	s_or_b32 exec_lo, exec_lo, s2
	v_or_b32_e32 v20, 1, v8
	s_mov_b32 s2, exec_lo
	v_cmpx_gt_i32_e64 s10, v20
	s_cbranch_execz .LBB6_95
; %bb.90:
	s_andn2_b32 vcc_lo, exec_lo, s1
	s_cbranch_vccnz .LBB6_92
; %bb.91:
	global_load_dwordx2 v[4:5], v[12:13], off offset:8
	s_waitcnt vmcnt(0)
	v_cmp_neq_f64_e32 vcc_lo, 0, v[4:5]
	v_mov_b32_e32 v7, v3
	v_mov_b32_e32 v6, v2
	v_mov_b32_e32 v5, v1
	v_mov_b32_e32 v4, v0
	v_add_co_ci_u32_e64 v21, null, 0, v2, vcc_lo
	v_mov_b32_e32 v6, v21
	s_cbranch_execz .LBB6_93
	s_branch .LBB6_94
.LBB6_92:
                                        ; implicit-def: $vgpr4_vgpr5_vgpr6_vgpr7
.LBB6_93:
	v_mad_u64_u32 v[4:5], null, s14, v20, 0
	v_mad_u64_u32 v[5:6], null, s15, v20, v[5:6]
	v_lshlrev_b64 v[4:5], 3, v[4:5]
	v_add_co_u32 v4, vcc_lo, v17, v4
	v_add_co_ci_u32_e64 v5, null, v18, v5, vcc_lo
	global_load_dwordx2 v[4:5], v[4:5], off offset:1024
	s_waitcnt vmcnt(0)
	v_cmp_neq_f64_e32 vcc_lo, 0, v[4:5]
	v_add_co_ci_u32_e64 v2, null, 0, v2, vcc_lo
	v_mov_b32_e32 v7, v3
	v_mov_b32_e32 v5, v1
	v_mov_b32_e32 v4, v0
	v_mov_b32_e32 v6, v2
.LBB6_94:
	v_mov_b32_e32 v0, v4
	v_mov_b32_e32 v1, v5
	v_mov_b32_e32 v2, v6
	v_mov_b32_e32 v3, v7
.LBB6_95:
	s_or_b32 exec_lo, exec_lo, s2
	v_or_b32_e32 v20, 2, v8
	s_mov_b32 s2, exec_lo
	v_cmpx_gt_i32_e64 s10, v20
	s_cbranch_execz .LBB6_101
; %bb.96:
	s_andn2_b32 vcc_lo, exec_lo, s1
	s_cbranch_vccnz .LBB6_98
; %bb.97:
	global_load_dwordx2 v[4:5], v[12:13], off offset:16
	s_waitcnt vmcnt(0)
	v_cmp_neq_f64_e32 vcc_lo, 0, v[4:5]
	v_mov_b32_e32 v7, v3
	v_mov_b32_e32 v6, v2
	v_mov_b32_e32 v5, v1
	v_mov_b32_e32 v4, v0
	v_add_co_ci_u32_e64 v21, null, 0, v2, vcc_lo
	v_mov_b32_e32 v6, v21
	s_cbranch_execz .LBB6_99
	s_branch .LBB6_100
.LBB6_98:
                                        ; implicit-def: $vgpr4_vgpr5_vgpr6_vgpr7
.LBB6_99:
	v_mad_u64_u32 v[4:5], null, s14, v20, 0
	v_mad_u64_u32 v[5:6], null, s15, v20, v[5:6]
	v_lshlrev_b64 v[4:5], 3, v[4:5]
	v_add_co_u32 v4, vcc_lo, v17, v4
	v_add_co_ci_u32_e64 v5, null, v18, v5, vcc_lo
	global_load_dwordx2 v[4:5], v[4:5], off offset:1024
	s_waitcnt vmcnt(0)
	v_cmp_neq_f64_e32 vcc_lo, 0, v[4:5]
	v_add_co_ci_u32_e64 v2, null, 0, v2, vcc_lo
	v_mov_b32_e32 v7, v3
	v_mov_b32_e32 v5, v1
	v_mov_b32_e32 v4, v0
	v_mov_b32_e32 v6, v2
.LBB6_100:
	v_mov_b32_e32 v0, v4
	v_mov_b32_e32 v1, v5
	v_mov_b32_e32 v2, v6
	v_mov_b32_e32 v3, v7
.LBB6_101:
	;; [unrolled: 42-line block ×3, first 2 shown]
	s_or_b32 exec_lo, exec_lo, s2
	s_or_b32 exec_lo, exec_lo, s0
	s_mov_b32 s2, exec_lo
	v_cmpx_gt_i32_e64 s9, v16
	s_cbranch_execz .LBB6_133
.LBB6_108:
	v_ashrrev_i32_e32 v6, 31, v16
	v_mul_lo_u32 v7, s15, v16
	v_mad_u64_u32 v[4:5], null, s14, v16, 0
	v_cndmask_b32_e64 v13, 0, 1, s1
	v_mul_lo_u32 v6, s14, v6
	v_add3_u32 v5, v5, v6, v7
	v_lshlrev_b64 v[6:7], 3, v[10:11]
	v_lshlrev_b64 v[4:5], 3, v[4:5]
	v_add_co_u32 v11, s0, s12, v6
	v_add_co_ci_u32_e64 v12, null, s13, v7, s0
	v_add_co_u32 v9, s0, v9, v4
	v_add_co_ci_u32_e64 v10, null, v19, v5, s0
	s_mov_b32 s0, exec_lo
	v_cmpx_gt_i32_e64 s10, v8
	s_cbranch_execz .LBB6_114
; %bb.109:
	s_andn2_b32 vcc_lo, exec_lo, s1
	s_cbranch_vccnz .LBB6_111
; %bb.110:
	global_load_dwordx2 v[4:5], v[9:10], off
	s_waitcnt vmcnt(0)
	v_cmp_neq_f64_e32 vcc_lo, 0, v[4:5]
	v_mov_b32_e32 v7, v3
	v_mov_b32_e32 v6, v2
	;; [unrolled: 1-line block ×4, first 2 shown]
	v_add_co_ci_u32_e64 v16, null, 0, v3, vcc_lo
	v_mov_b32_e32 v7, v16
	s_cbranch_execz .LBB6_112
	s_branch .LBB6_113
.LBB6_111:
                                        ; implicit-def: $vgpr4_vgpr5_vgpr6_vgpr7
.LBB6_112:
	v_mad_u64_u32 v[4:5], null, s14, v8, 0
	v_mad_u64_u32 v[5:6], null, s15, v8, v[5:6]
	v_lshlrev_b64 v[4:5], 3, v[4:5]
	v_add_co_u32 v4, vcc_lo, v11, v4
	v_add_co_ci_u32_e64 v5, null, v12, v5, vcc_lo
	global_load_dwordx2 v[4:5], v[4:5], off offset:1536
	s_waitcnt vmcnt(0)
	v_cmp_neq_f64_e32 vcc_lo, 0, v[4:5]
	v_add_co_ci_u32_e64 v3, null, 0, v3, vcc_lo
	v_mov_b32_e32 v7, v3
	v_mov_b32_e32 v6, v2
	;; [unrolled: 1-line block ×4, first 2 shown]
.LBB6_113:
	v_mov_b32_e32 v0, v4
	v_mov_b32_e32 v1, v5
	;; [unrolled: 1-line block ×4, first 2 shown]
.LBB6_114:
	s_or_b32 exec_lo, exec_lo, s0
	v_or_b32_e32 v16, 1, v8
	s_mov_b32 s0, exec_lo
	v_cmpx_gt_i32_e64 s10, v16
	s_cbranch_execz .LBB6_120
; %bb.115:
	v_cmp_ne_u32_e32 vcc_lo, 1, v13
	s_cbranch_vccnz .LBB6_117
; %bb.116:
	global_load_dwordx2 v[4:5], v[9:10], off offset:8
	s_waitcnt vmcnt(0)
	v_cmp_neq_f64_e32 vcc_lo, 0, v[4:5]
	v_mov_b32_e32 v7, v3
	v_mov_b32_e32 v6, v2
	v_mov_b32_e32 v5, v1
	v_mov_b32_e32 v4, v0
	v_add_co_ci_u32_e64 v17, null, 0, v3, vcc_lo
	v_mov_b32_e32 v7, v17
	s_cbranch_execz .LBB6_118
	s_branch .LBB6_119
.LBB6_117:
                                        ; implicit-def: $vgpr4_vgpr5_vgpr6_vgpr7
.LBB6_118:
	v_mad_u64_u32 v[4:5], null, s14, v16, 0
	v_mad_u64_u32 v[5:6], null, s15, v16, v[5:6]
	v_lshlrev_b64 v[4:5], 3, v[4:5]
	v_add_co_u32 v4, vcc_lo, v11, v4
	v_add_co_ci_u32_e64 v5, null, v12, v5, vcc_lo
	global_load_dwordx2 v[4:5], v[4:5], off offset:1536
	s_waitcnt vmcnt(0)
	v_cmp_neq_f64_e32 vcc_lo, 0, v[4:5]
	v_add_co_ci_u32_e64 v3, null, 0, v3, vcc_lo
	v_mov_b32_e32 v7, v3
	v_mov_b32_e32 v6, v2
	v_mov_b32_e32 v5, v1
	v_mov_b32_e32 v4, v0
.LBB6_119:
	v_mov_b32_e32 v0, v4
	v_mov_b32_e32 v1, v5
	v_mov_b32_e32 v2, v6
	v_mov_b32_e32 v3, v7
.LBB6_120:
	s_or_b32 exec_lo, exec_lo, s0
	v_or_b32_e32 v16, 2, v8
	s_mov_b32 s0, exec_lo
	v_cmpx_gt_i32_e64 s10, v16
	s_cbranch_execz .LBB6_126
; %bb.121:
	v_cmp_ne_u32_e32 vcc_lo, 1, v13
	s_cbranch_vccnz .LBB6_123
; %bb.122:
	global_load_dwordx2 v[4:5], v[9:10], off offset:16
	s_waitcnt vmcnt(0)
	v_cmp_neq_f64_e32 vcc_lo, 0, v[4:5]
	v_mov_b32_e32 v7, v3
	v_mov_b32_e32 v6, v2
	v_mov_b32_e32 v5, v1
	v_mov_b32_e32 v4, v0
	v_add_co_ci_u32_e64 v17, null, 0, v3, vcc_lo
	v_mov_b32_e32 v7, v17
	s_cbranch_execz .LBB6_124
	s_branch .LBB6_125
.LBB6_123:
                                        ; implicit-def: $vgpr4_vgpr5_vgpr6_vgpr7
.LBB6_124:
	v_mad_u64_u32 v[4:5], null, s14, v16, 0
	v_mad_u64_u32 v[5:6], null, s15, v16, v[5:6]
	v_lshlrev_b64 v[4:5], 3, v[4:5]
	v_add_co_u32 v4, vcc_lo, v11, v4
	v_add_co_ci_u32_e64 v5, null, v12, v5, vcc_lo
	global_load_dwordx2 v[4:5], v[4:5], off offset:1536
	s_waitcnt vmcnt(0)
	v_cmp_neq_f64_e32 vcc_lo, 0, v[4:5]
	v_add_co_ci_u32_e64 v3, null, 0, v3, vcc_lo
	v_mov_b32_e32 v7, v3
	v_mov_b32_e32 v6, v2
	v_mov_b32_e32 v5, v1
	v_mov_b32_e32 v4, v0
.LBB6_125:
	v_mov_b32_e32 v0, v4
	v_mov_b32_e32 v1, v5
	v_mov_b32_e32 v2, v6
	v_mov_b32_e32 v3, v7
.LBB6_126:
	s_or_b32 exec_lo, exec_lo, s0
	v_or_b32_e32 v8, 3, v8
	s_mov_b32 s0, exec_lo
	v_cmpx_gt_i32_e64 s10, v8
	s_cbranch_execz .LBB6_132
; %bb.127:
	v_cmp_ne_u32_e32 vcc_lo, 1, v13
	s_cbranch_vccnz .LBB6_129
; %bb.128:
	global_load_dwordx2 v[4:5], v[9:10], off offset:24
	s_waitcnt vmcnt(0)
	v_cmp_neq_f64_e32 vcc_lo, 0, v[4:5]
	v_mov_b32_e32 v7, v3
	v_mov_b32_e32 v6, v2
	v_mov_b32_e32 v5, v1
	v_mov_b32_e32 v4, v0
	v_add_co_ci_u32_e64 v9, null, 0, v3, vcc_lo
	v_mov_b32_e32 v7, v9
	s_cbranch_execz .LBB6_130
	s_branch .LBB6_131
.LBB6_129:
                                        ; implicit-def: $vgpr4_vgpr5_vgpr6_vgpr7
.LBB6_130:
	v_mad_u64_u32 v[4:5], null, s14, v8, 0
	v_mad_u64_u32 v[5:6], null, s15, v8, v[5:6]
	v_lshlrev_b64 v[4:5], 3, v[4:5]
	v_add_co_u32 v4, vcc_lo, v11, v4
	v_add_co_ci_u32_e64 v5, null, v12, v5, vcc_lo
	global_load_dwordx2 v[4:5], v[4:5], off offset:1536
	s_waitcnt vmcnt(0)
	v_cmp_neq_f64_e32 vcc_lo, 0, v[4:5]
	v_add_co_ci_u32_e64 v3, null, 0, v3, vcc_lo
	v_mov_b32_e32 v7, v3
	v_mov_b32_e32 v6, v2
	v_mov_b32_e32 v5, v1
	v_mov_b32_e32 v4, v0
.LBB6_131:
	v_mov_b32_e32 v0, v4
	v_mov_b32_e32 v1, v5
	v_mov_b32_e32 v2, v6
	v_mov_b32_e32 v3, v7
.LBB6_132:
	s_or_b32 exec_lo, exec_lo, s0
.LBB6_133:
	s_or_b32 exec_lo, exec_lo, s2
.LBB6_134:
	v_lshlrev_b32_e32 v4, 4, v14
	v_lshlrev_b32_e32 v5, 2, v15
	s_mov_b32 s0, exec_lo
	v_and_or_b32 v4, 0x7ffffc00, v4, v5
	ds_write2st64_b32 v4, v0, v1 offset1:1
	ds_write2st64_b32 v4, v2, v3 offset0:2 offset1:3
	s_waitcnt lgkmcnt(0)
	s_barrier
	buffer_gl0_inv
	v_cmpx_gt_u32_e32 0x100, v14
	s_cbranch_execz .LBB6_137
; %bb.135:
	v_lshlrev_b32_e32 v8, 2, v14
	ds_read2st64_b32 v[0:1], v8 offset1:4
	ds_read2st64_b32 v[2:3], v8 offset0:8 offset1:12
	ds_read2st64_b32 v[4:5], v8 offset0:16 offset1:20
	;; [unrolled: 1-line block ×3, first 2 shown]
	s_waitcnt lgkmcnt(3)
	v_add_nc_u32_e32 v9, v0, v1
	ds_read2st64_b32 v[0:1], v8 offset0:32 offset1:36
	s_waitcnt lgkmcnt(3)
	v_add3_u32 v9, v9, v2, v3
	ds_read2st64_b32 v[2:3], v8 offset0:40 offset1:44
	s_waitcnt lgkmcnt(3)
	v_add3_u32 v9, v9, v4, v5
	;; [unrolled: 3-line block ×4, first 2 shown]
	s_waitcnt lgkmcnt(2)
	v_add3_u32 v0, v0, v2, v3
	s_waitcnt lgkmcnt(1)
	v_add3_u32 v1, v0, v4, v5
	v_add_nc_u32_e32 v0, s5, v14
	s_waitcnt lgkmcnt(0)
	v_add3_u32 v2, v1, v6, v7
	v_cmp_gt_i32_e32 vcc_lo, s9, v0
	ds_write_b32 v8, v2
	s_and_b32 exec_lo, exec_lo, vcc_lo
	s_cbranch_execz .LBB6_137
; %bb.136:
	v_ashrrev_i32_e32 v1, 31, v0
	v_lshlrev_b64 v[0:1], 2, v[0:1]
	v_add_co_u32 v0, vcc_lo, s16, v0
	v_add_co_ci_u32_e64 v1, null, s17, v1, vcc_lo
	global_store_dword v[0:1], v2, off
.LBB6_137:
	s_endpgm
	.section	.rodata,"a",@progbits
	.p2align	6, 0x0
	.amdhsa_kernel _ZN9rocsparseL14nnz_kernel_rowILi64ELi16EiidEEv16rocsparse_order_T2_S2_PKT3_lPT1_
		.amdhsa_group_segment_fixed_size 16384
		.amdhsa_private_segment_fixed_size 0
		.amdhsa_kernarg_size 296
		.amdhsa_user_sgpr_count 6
		.amdhsa_user_sgpr_private_segment_buffer 1
		.amdhsa_user_sgpr_dispatch_ptr 0
		.amdhsa_user_sgpr_queue_ptr 0
		.amdhsa_user_sgpr_kernarg_segment_ptr 1
		.amdhsa_user_sgpr_dispatch_id 0
		.amdhsa_user_sgpr_flat_scratch_init 0
		.amdhsa_user_sgpr_private_segment_size 0
		.amdhsa_wavefront_size32 1
		.amdhsa_uses_dynamic_stack 0
		.amdhsa_system_sgpr_private_segment_wavefront_offset 0
		.amdhsa_system_sgpr_workgroup_id_x 1
		.amdhsa_system_sgpr_workgroup_id_y 0
		.amdhsa_system_sgpr_workgroup_id_z 0
		.amdhsa_system_sgpr_workgroup_info 0
		.amdhsa_system_vgpr_workitem_id 1
		.amdhsa_next_free_vgpr 36
		.amdhsa_next_free_sgpr 22
		.amdhsa_reserve_vcc 1
		.amdhsa_reserve_flat_scratch 0
		.amdhsa_float_round_mode_32 0
		.amdhsa_float_round_mode_16_64 0
		.amdhsa_float_denorm_mode_32 3
		.amdhsa_float_denorm_mode_16_64 3
		.amdhsa_dx10_clamp 1
		.amdhsa_ieee_mode 1
		.amdhsa_fp16_overflow 0
		.amdhsa_workgroup_processor_mode 1
		.amdhsa_memory_ordered 1
		.amdhsa_forward_progress 1
		.amdhsa_shared_vgpr_count 0
		.amdhsa_exception_fp_ieee_invalid_op 0
		.amdhsa_exception_fp_denorm_src 0
		.amdhsa_exception_fp_ieee_div_zero 0
		.amdhsa_exception_fp_ieee_overflow 0
		.amdhsa_exception_fp_ieee_underflow 0
		.amdhsa_exception_fp_ieee_inexact 0
		.amdhsa_exception_int_div_zero 0
	.end_amdhsa_kernel
	.section	.text._ZN9rocsparseL14nnz_kernel_rowILi64ELi16EiidEEv16rocsparse_order_T2_S2_PKT3_lPT1_,"axG",@progbits,_ZN9rocsparseL14nnz_kernel_rowILi64ELi16EiidEEv16rocsparse_order_T2_S2_PKT3_lPT1_,comdat
.Lfunc_end6:
	.size	_ZN9rocsparseL14nnz_kernel_rowILi64ELi16EiidEEv16rocsparse_order_T2_S2_PKT3_lPT1_, .Lfunc_end6-_ZN9rocsparseL14nnz_kernel_rowILi64ELi16EiidEEv16rocsparse_order_T2_S2_PKT3_lPT1_
                                        ; -- End function
	.set _ZN9rocsparseL14nnz_kernel_rowILi64ELi16EiidEEv16rocsparse_order_T2_S2_PKT3_lPT1_.num_vgpr, 36
	.set _ZN9rocsparseL14nnz_kernel_rowILi64ELi16EiidEEv16rocsparse_order_T2_S2_PKT3_lPT1_.num_agpr, 0
	.set _ZN9rocsparseL14nnz_kernel_rowILi64ELi16EiidEEv16rocsparse_order_T2_S2_PKT3_lPT1_.numbered_sgpr, 22
	.set _ZN9rocsparseL14nnz_kernel_rowILi64ELi16EiidEEv16rocsparse_order_T2_S2_PKT3_lPT1_.num_named_barrier, 0
	.set _ZN9rocsparseL14nnz_kernel_rowILi64ELi16EiidEEv16rocsparse_order_T2_S2_PKT3_lPT1_.private_seg_size, 0
	.set _ZN9rocsparseL14nnz_kernel_rowILi64ELi16EiidEEv16rocsparse_order_T2_S2_PKT3_lPT1_.uses_vcc, 1
	.set _ZN9rocsparseL14nnz_kernel_rowILi64ELi16EiidEEv16rocsparse_order_T2_S2_PKT3_lPT1_.uses_flat_scratch, 0
	.set _ZN9rocsparseL14nnz_kernel_rowILi64ELi16EiidEEv16rocsparse_order_T2_S2_PKT3_lPT1_.has_dyn_sized_stack, 0
	.set _ZN9rocsparseL14nnz_kernel_rowILi64ELi16EiidEEv16rocsparse_order_T2_S2_PKT3_lPT1_.has_recursion, 0
	.set _ZN9rocsparseL14nnz_kernel_rowILi64ELi16EiidEEv16rocsparse_order_T2_S2_PKT3_lPT1_.has_indirect_call, 0
	.section	.AMDGPU.csdata,"",@progbits
; Kernel info:
; codeLenInByte = 5912
; TotalNumSgprs: 24
; NumVgprs: 36
; ScratchSize: 0
; MemoryBound: 0
; FloatMode: 240
; IeeeMode: 1
; LDSByteSize: 16384 bytes/workgroup (compile time only)
; SGPRBlocks: 0
; VGPRBlocks: 4
; NumSGPRsForWavesPerEU: 24
; NumVGPRsForWavesPerEU: 36
; Occupancy: 16
; WaveLimiterHint : 0
; COMPUTE_PGM_RSRC2:SCRATCH_EN: 0
; COMPUTE_PGM_RSRC2:USER_SGPR: 6
; COMPUTE_PGM_RSRC2:TRAP_HANDLER: 0
; COMPUTE_PGM_RSRC2:TGID_X_EN: 1
; COMPUTE_PGM_RSRC2:TGID_Y_EN: 0
; COMPUTE_PGM_RSRC2:TGID_Z_EN: 0
; COMPUTE_PGM_RSRC2:TIDIG_COMP_CNT: 1
	.section	.text._ZN9rocsparseL14nnz_kernel_colILi256EiidEEv16rocsparse_order_T1_S2_PKT2_lPT0_,"axG",@progbits,_ZN9rocsparseL14nnz_kernel_colILi256EiidEEv16rocsparse_order_T1_S2_PKT2_lPT0_,comdat
	.globl	_ZN9rocsparseL14nnz_kernel_colILi256EiidEEv16rocsparse_order_T1_S2_PKT2_lPT0_ ; -- Begin function _ZN9rocsparseL14nnz_kernel_colILi256EiidEEv16rocsparse_order_T1_S2_PKT2_lPT0_
	.p2align	8
	.type	_ZN9rocsparseL14nnz_kernel_colILi256EiidEEv16rocsparse_order_T1_S2_PKT2_lPT0_,@function
_ZN9rocsparseL14nnz_kernel_colILi256EiidEEv16rocsparse_order_T1_S2_PKT2_lPT0_: ; @_ZN9rocsparseL14nnz_kernel_colILi256EiidEEv16rocsparse_order_T1_S2_PKT2_lPT0_
; %bb.0:
	s_clause 0x1
	s_load_dwordx2 s[8:9], s[4:5], 0x0
	s_load_dwordx4 s[0:3], s[4:5], 0x10
	s_waitcnt lgkmcnt(0)
	s_ashr_i32 s7, s9, 31
	s_lshr_b32 s7, s7, 24
	s_add_i32 s7, s9, s7
	s_and_b32 s10, s7, 0xffffff00
	s_cmp_eq_u32 s8, 1
	s_cbranch_scc1 .LBB7_6
; %bb.1:
	v_mov_b32_e32 v5, 0
	s_cmpk_lt_i32 s9, 0x100
	s_cbranch_scc1 .LBB7_7
; %bb.2:
	v_mad_u64_u32 v[1:2], null, s2, v0, 0
	s_ashr_i32 s7, s6, 31
	v_mov_b32_e32 v5, 0
	s_lshl_b64 s[12:13], s[6:7], 3
	s_add_u32 s7, s0, s12
	s_addc_u32 s8, s1, s13
	v_mad_u64_u32 v[2:3], null, s3, v0, v[2:3]
	s_lshl_b64 s[12:13], s[2:3], 11
	v_lshlrev_b64 v[1:2], 3, v[1:2]
	v_add_co_u32 v1, vcc_lo, s7, v1
	v_add_co_ci_u32_e64 v2, null, s8, v2, vcc_lo
	s_mov_b32 s7, 0
	s_branch .LBB7_4
	.p2align	6
.LBB7_3:                                ;   in Loop: Header=BB7_4 Depth=1
	s_or_b32 exec_lo, exec_lo, s8
	v_add_co_u32 v1, vcc_lo, v1, s12
	v_add_co_ci_u32_e64 v2, null, s13, v2, vcc_lo
	s_addk_i32 s7, 0x100
	s_cmp_ge_i32 s7, s10
	s_cbranch_scc1 .LBB7_7
.LBB7_4:                                ; =>This Inner Loop Header: Depth=1
	v_add_nc_u32_e32 v3, s7, v0
	s_mov_b32 s8, exec_lo
	v_cmpx_gt_i32_e64 s9, v3
	s_cbranch_execz .LBB7_3
; %bb.5:                                ;   in Loop: Header=BB7_4 Depth=1
	global_load_dwordx2 v[3:4], v[1:2], off
	s_waitcnt vmcnt(0)
	v_cmp_neq_f64_e32 vcc_lo, 0, v[3:4]
	v_add_co_ci_u32_e64 v5, null, 0, v5, vcc_lo
	s_branch .LBB7_3
.LBB7_6:
                                        ; implicit-def: $vgpr5
	s_load_dwordx2 s[4:5], s[4:5], 0x20
	s_cbranch_execnz .LBB7_10
	s_branch .LBB7_16
.LBB7_7:
	v_add_nc_u32_e32 v1, s10, v0
	s_mov_b32 s8, exec_lo
	v_cmpx_gt_i32_e64 s9, v1
	s_cbranch_execz .LBB7_9
; %bb.8:
	v_ashrrev_i32_e32 v3, 31, v1
	v_mul_lo_u32 v4, s3, v1
	v_mad_u64_u32 v[1:2], null, s2, v1, 0
	s_ashr_i32 s7, s6, 31
	v_mul_lo_u32 v3, s2, v3
	s_lshl_b64 s[12:13], s[6:7], 3
	v_add3_u32 v2, v2, v3, v4
	v_lshlrev_b64 v[1:2], 3, v[1:2]
	v_add_co_u32 v1, vcc_lo, s0, v1
	v_add_co_ci_u32_e64 v2, null, s1, v2, vcc_lo
	v_add_co_u32 v1, vcc_lo, v1, s12
	v_add_co_ci_u32_e64 v2, null, s13, v2, vcc_lo
	global_load_dwordx2 v[1:2], v[1:2], off
	s_waitcnt vmcnt(0)
	v_cmp_neq_f64_e32 vcc_lo, 0, v[1:2]
	v_add_co_ci_u32_e64 v5, null, 0, v5, vcc_lo
.LBB7_9:
	s_or_b32 exec_lo, exec_lo, s8
	s_load_dwordx2 s[4:5], s[4:5], 0x20
	s_branch .LBB7_16
.LBB7_10:
	v_cmp_gt_i32_e32 vcc_lo, s9, v0
	s_ashr_i32 s7, s6, 31
	s_mul_hi_u32 s8, s2, s6
	s_mul_i32 s7, s2, s7
	s_mul_i32 s3, s3, s6
	v_cndmask_b32_e32 v1, 0, v0, vcc_lo
	s_add_i32 s7, s8, s7
	s_mul_i32 s2, s2, s6
	s_add_i32 s3, s7, s3
	v_mov_b32_e32 v5, 0
	v_lshlrev_b32_e32 v1, 3, v1
	s_lshl_b64 s[2:3], s[2:3], 3
	s_add_u32 s0, s0, s2
	s_addc_u32 s1, s1, s3
	v_add_co_u32 v1, s0, s0, v1
	v_add_co_ci_u32_e64 v2, null, s1, 0, s0
	s_cmpk_lt_i32 s9, 0x100
	s_cbranch_scc1 .LBB7_13
; %bb.11:
	v_mov_b32_e32 v4, v2
	v_mov_b32_e32 v5, 0
	;; [unrolled: 1-line block ×3, first 2 shown]
	s_mov_b32 s0, 0
.LBB7_12:                               ; =>This Inner Loop Header: Depth=1
	global_load_dwordx2 v[6:7], v[3:4], off
	v_add_co_u32 v3, vcc_lo, 0x800, v3
	v_add_co_ci_u32_e64 v4, null, 0, v4, vcc_lo
	s_addk_i32 s0, 0x100
	s_cmp_ge_i32 s0, s10
	s_waitcnt vmcnt(0)
	v_cmp_neq_f64_e32 vcc_lo, 0, v[6:7]
	v_add_co_ci_u32_e64 v5, null, 0, v5, vcc_lo
	s_cbranch_scc0 .LBB7_12
.LBB7_13:
	v_add_nc_u32_e32 v3, s10, v0
	s_mov_b32 s0, exec_lo
	v_cmpx_gt_i32_e64 s9, v3
	s_cbranch_execz .LBB7_15
; %bb.14:
	s_ashr_i32 s11, s10, 31
	s_lshl_b64 s[2:3], s[10:11], 3
	v_add_co_u32 v1, vcc_lo, v1, s2
	v_add_co_ci_u32_e64 v2, null, s3, v2, vcc_lo
	global_load_dwordx2 v[1:2], v[1:2], off
	s_waitcnt vmcnt(0)
	v_cmp_neq_f64_e32 vcc_lo, 0, v[1:2]
	v_add_co_ci_u32_e64 v5, null, 0, v5, vcc_lo
.LBB7_15:
	s_or_b32 exec_lo, exec_lo, s0
.LBB7_16:
	v_lshlrev_b32_e32 v1, 2, v0
	s_cmpk_lt_i32 s9, 0x100
	s_mov_b32 s0, -1
	v_cmp_eq_u32_e32 vcc_lo, 0, v0
	ds_write_b32 v1, v5
	s_waitcnt lgkmcnt(0)
	s_cbranch_scc0 .LBB7_27
; %bb.17:
	s_cmp_gt_i32 s9, 1
	s_mov_b32 s2, 1
	s_cselect_b32 s0, -1, 0
	s_barrier
	s_and_b32 s1, vcc_lo, s0
	buffer_gl0_inv
	s_and_saveexec_b32 s0, s1
	s_cbranch_execz .LBB7_26
; %bb.18:
	v_mov_b32_e32 v2, 0
	s_add_i32 s3, s9, -2
	s_add_i32 s1, s9, -1
	s_cmp_lt_u32 s3, 7
	ds_read_b32 v2, v2
	s_cbranch_scc1 .LBB7_22
; %bb.19:
	s_and_b32 s2, s1, -8
	s_mov_b32 s7, 0
	s_mov_b32 s3, 4
	.p2align	6
.LBB7_20:                               ; =>This Inner Loop Header: Depth=1
	v_mov_b32_e32 v9, s3
	s_mov_b32 s8, s7
	s_add_i32 s7, s7, 8
	s_add_i32 s3, s3, 32
	s_cmp_lg_u32 s2, s7
	ds_read2_b32 v[3:4], v9 offset1:1
	ds_read2_b32 v[5:6], v9 offset0:2 offset1:3
	ds_read2_b32 v[7:8], v9 offset0:4 offset1:5
	;; [unrolled: 1-line block ×3, first 2 shown]
	s_waitcnt lgkmcnt(3)
	v_add_nc_u32_e32 v2, v2, v3
	v_add_nc_u32_e32 v2, v2, v4
	s_waitcnt lgkmcnt(2)
	v_add_nc_u32_e32 v2, v2, v5
	v_add_nc_u32_e32 v2, v2, v6
	;; [unrolled: 3-line block ×4, first 2 shown]
	s_cbranch_scc1 .LBB7_20
; %bb.21:
	s_add_i32 s2, s8, 9
.LBB7_22:
	s_and_b32 s1, s1, 7
	s_cmp_eq_u32 s1, 0
	s_cbranch_scc1 .LBB7_25
; %bb.23:
	s_lshl_b32 s2, s2, 2
.LBB7_24:                               ; =>This Inner Loop Header: Depth=1
	v_mov_b32_e32 v3, s2
	s_add_i32 s1, s1, -1
	s_add_i32 s2, s2, 4
	s_cmp_lg_u32 s1, 0
	ds_read_b32 v3, v3
	s_waitcnt lgkmcnt(0)
	v_add_nc_u32_e32 v2, v2, v3
	s_cbranch_scc1 .LBB7_24
.LBB7_25:
	v_mov_b32_e32 v3, 0
	s_waitcnt lgkmcnt(0)
	ds_write_b32 v3, v2
.LBB7_26:
	s_or_b32 exec_lo, exec_lo, s0
	s_mov_b32 s0, 0
	s_waitcnt lgkmcnt(0)
	s_barrier
.LBB7_27:
	s_and_b32 vcc_lo, exec_lo, s0
	s_cbranch_vccz .LBB7_45
; %bb.28:
	s_mov_b32 s0, exec_lo
	s_barrier
	buffer_gl0_inv
	v_cmpx_gt_u32_e32 0x80, v0
	s_cbranch_execz .LBB7_30
; %bb.29:
	ds_read2st64_b32 v[2:3], v1 offset1:2
	s_waitcnt lgkmcnt(0)
	v_add_nc_u32_e32 v2, v2, v3
	ds_write_b32 v1, v2
.LBB7_30:
	s_or_b32 exec_lo, exec_lo, s0
	s_mov_b32 s0, exec_lo
	s_waitcnt lgkmcnt(0)
	s_barrier
	buffer_gl0_inv
	v_cmpx_gt_u32_e32 64, v0
	s_cbranch_execz .LBB7_32
; %bb.31:
	ds_read2st64_b32 v[2:3], v1 offset1:1
	s_waitcnt lgkmcnt(0)
	v_add_nc_u32_e32 v2, v2, v3
	ds_write_b32 v1, v2
.LBB7_32:
	s_or_b32 exec_lo, exec_lo, s0
	s_mov_b32 s0, exec_lo
	s_waitcnt lgkmcnt(0)
	s_barrier
	buffer_gl0_inv
	v_cmpx_gt_u32_e32 32, v0
	s_cbranch_execz .LBB7_34
; %bb.33:
	ds_read2_b32 v[2:3], v1 offset1:32
	s_waitcnt lgkmcnt(0)
	v_add_nc_u32_e32 v2, v2, v3
	ds_write_b32 v1, v2
.LBB7_34:
	s_or_b32 exec_lo, exec_lo, s0
	s_mov_b32 s0, exec_lo
	s_waitcnt lgkmcnt(0)
	s_barrier
	buffer_gl0_inv
	v_cmpx_gt_u32_e32 16, v0
	s_cbranch_execz .LBB7_36
; %bb.35:
	ds_read2_b32 v[2:3], v1 offset1:16
	s_waitcnt lgkmcnt(0)
	v_add_nc_u32_e32 v2, v2, v3
	ds_write_b32 v1, v2
.LBB7_36:
	;; [unrolled: 13-line block ×5, first 2 shown]
	s_or_b32 exec_lo, exec_lo, s0
	s_mov_b32 s0, exec_lo
	s_waitcnt lgkmcnt(0)
	s_barrier
	buffer_gl0_inv
	v_cmpx_eq_u32_e32 0, v0
	s_cbranch_execz .LBB7_44
; %bb.43:
	v_mov_b32_e32 v3, 0
	ds_read_b64 v[1:2], v3
	s_waitcnt lgkmcnt(0)
	v_add_nc_u32_e32 v1, v1, v2
	ds_write_b32 v3, v1
.LBB7_44:
	s_or_b32 exec_lo, exec_lo, s0
	s_waitcnt lgkmcnt(0)
	s_barrier
.LBB7_45:
	buffer_gl0_inv
	s_mov_b32 s0, exec_lo
	v_cmpx_eq_u32_e32 0, v0
	s_cbranch_execz .LBB7_47
; %bb.46:
	v_mov_b32_e32 v0, 0
	s_ashr_i32 s7, s6, 31
	s_lshl_b64 s[0:1], s[6:7], 2
	s_add_u32 s0, s4, s0
	ds_read_b32 v1, v0
	s_addc_u32 s1, s5, s1
	s_waitcnt lgkmcnt(0)
	global_store_dword v0, v1, s[0:1]
.LBB7_47:
	s_endpgm
	.section	.rodata,"a",@progbits
	.p2align	6, 0x0
	.amdhsa_kernel _ZN9rocsparseL14nnz_kernel_colILi256EiidEEv16rocsparse_order_T1_S2_PKT2_lPT0_
		.amdhsa_group_segment_fixed_size 1024
		.amdhsa_private_segment_fixed_size 0
		.amdhsa_kernarg_size 40
		.amdhsa_user_sgpr_count 6
		.amdhsa_user_sgpr_private_segment_buffer 1
		.amdhsa_user_sgpr_dispatch_ptr 0
		.amdhsa_user_sgpr_queue_ptr 0
		.amdhsa_user_sgpr_kernarg_segment_ptr 1
		.amdhsa_user_sgpr_dispatch_id 0
		.amdhsa_user_sgpr_flat_scratch_init 0
		.amdhsa_user_sgpr_private_segment_size 0
		.amdhsa_wavefront_size32 1
		.amdhsa_uses_dynamic_stack 0
		.amdhsa_system_sgpr_private_segment_wavefront_offset 0
		.amdhsa_system_sgpr_workgroup_id_x 1
		.amdhsa_system_sgpr_workgroup_id_y 0
		.amdhsa_system_sgpr_workgroup_id_z 0
		.amdhsa_system_sgpr_workgroup_info 0
		.amdhsa_system_vgpr_workitem_id 0
		.amdhsa_next_free_vgpr 11
		.amdhsa_next_free_sgpr 14
		.amdhsa_reserve_vcc 1
		.amdhsa_reserve_flat_scratch 0
		.amdhsa_float_round_mode_32 0
		.amdhsa_float_round_mode_16_64 0
		.amdhsa_float_denorm_mode_32 3
		.amdhsa_float_denorm_mode_16_64 3
		.amdhsa_dx10_clamp 1
		.amdhsa_ieee_mode 1
		.amdhsa_fp16_overflow 0
		.amdhsa_workgroup_processor_mode 1
		.amdhsa_memory_ordered 1
		.amdhsa_forward_progress 1
		.amdhsa_shared_vgpr_count 0
		.amdhsa_exception_fp_ieee_invalid_op 0
		.amdhsa_exception_fp_denorm_src 0
		.amdhsa_exception_fp_ieee_div_zero 0
		.amdhsa_exception_fp_ieee_overflow 0
		.amdhsa_exception_fp_ieee_underflow 0
		.amdhsa_exception_fp_ieee_inexact 0
		.amdhsa_exception_int_div_zero 0
	.end_amdhsa_kernel
	.section	.text._ZN9rocsparseL14nnz_kernel_colILi256EiidEEv16rocsparse_order_T1_S2_PKT2_lPT0_,"axG",@progbits,_ZN9rocsparseL14nnz_kernel_colILi256EiidEEv16rocsparse_order_T1_S2_PKT2_lPT0_,comdat
.Lfunc_end7:
	.size	_ZN9rocsparseL14nnz_kernel_colILi256EiidEEv16rocsparse_order_T1_S2_PKT2_lPT0_, .Lfunc_end7-_ZN9rocsparseL14nnz_kernel_colILi256EiidEEv16rocsparse_order_T1_S2_PKT2_lPT0_
                                        ; -- End function
	.set _ZN9rocsparseL14nnz_kernel_colILi256EiidEEv16rocsparse_order_T1_S2_PKT2_lPT0_.num_vgpr, 11
	.set _ZN9rocsparseL14nnz_kernel_colILi256EiidEEv16rocsparse_order_T1_S2_PKT2_lPT0_.num_agpr, 0
	.set _ZN9rocsparseL14nnz_kernel_colILi256EiidEEv16rocsparse_order_T1_S2_PKT2_lPT0_.numbered_sgpr, 14
	.set _ZN9rocsparseL14nnz_kernel_colILi256EiidEEv16rocsparse_order_T1_S2_PKT2_lPT0_.num_named_barrier, 0
	.set _ZN9rocsparseL14nnz_kernel_colILi256EiidEEv16rocsparse_order_T1_S2_PKT2_lPT0_.private_seg_size, 0
	.set _ZN9rocsparseL14nnz_kernel_colILi256EiidEEv16rocsparse_order_T1_S2_PKT2_lPT0_.uses_vcc, 1
	.set _ZN9rocsparseL14nnz_kernel_colILi256EiidEEv16rocsparse_order_T1_S2_PKT2_lPT0_.uses_flat_scratch, 0
	.set _ZN9rocsparseL14nnz_kernel_colILi256EiidEEv16rocsparse_order_T1_S2_PKT2_lPT0_.has_dyn_sized_stack, 0
	.set _ZN9rocsparseL14nnz_kernel_colILi256EiidEEv16rocsparse_order_T1_S2_PKT2_lPT0_.has_recursion, 0
	.set _ZN9rocsparseL14nnz_kernel_colILi256EiidEEv16rocsparse_order_T1_S2_PKT2_lPT0_.has_indirect_call, 0
	.section	.AMDGPU.csdata,"",@progbits
; Kernel info:
; codeLenInByte = 1492
; TotalNumSgprs: 16
; NumVgprs: 11
; ScratchSize: 0
; MemoryBound: 0
; FloatMode: 240
; IeeeMode: 1
; LDSByteSize: 1024 bytes/workgroup (compile time only)
; SGPRBlocks: 0
; VGPRBlocks: 1
; NumSGPRsForWavesPerEU: 16
; NumVGPRsForWavesPerEU: 11
; Occupancy: 16
; WaveLimiterHint : 0
; COMPUTE_PGM_RSRC2:SCRATCH_EN: 0
; COMPUTE_PGM_RSRC2:USER_SGPR: 6
; COMPUTE_PGM_RSRC2:TRAP_HANDLER: 0
; COMPUTE_PGM_RSRC2:TGID_X_EN: 1
; COMPUTE_PGM_RSRC2:TGID_Y_EN: 0
; COMPUTE_PGM_RSRC2:TGID_Z_EN: 0
; COMPUTE_PGM_RSRC2:TIDIG_COMP_CNT: 0
	.section	.text._ZN9rocsparseL14nnz_kernel_rowILi64ELi16Eii21rocsparse_complex_numIfEEEv16rocsparse_order_T2_S4_PKT3_lPT1_,"axG",@progbits,_ZN9rocsparseL14nnz_kernel_rowILi64ELi16Eii21rocsparse_complex_numIfEEEv16rocsparse_order_T2_S4_PKT3_lPT1_,comdat
	.globl	_ZN9rocsparseL14nnz_kernel_rowILi64ELi16Eii21rocsparse_complex_numIfEEEv16rocsparse_order_T2_S4_PKT3_lPT1_ ; -- Begin function _ZN9rocsparseL14nnz_kernel_rowILi64ELi16Eii21rocsparse_complex_numIfEEEv16rocsparse_order_T2_S4_PKT3_lPT1_
	.p2align	8
	.type	_ZN9rocsparseL14nnz_kernel_rowILi64ELi16Eii21rocsparse_complex_numIfEEEv16rocsparse_order_T2_S4_PKT3_lPT1_,@function
_ZN9rocsparseL14nnz_kernel_rowILi64ELi16Eii21rocsparse_complex_numIfEEEv16rocsparse_order_T2_S4_PKT3_lPT1_: ; @_ZN9rocsparseL14nnz_kernel_rowILi64ELi16Eii21rocsparse_complex_numIfEEEv16rocsparse_order_T2_S4_PKT3_lPT1_
; %bb.0:
	s_clause 0x2
	s_load_dword s0, s[4:5], 0x34
	s_load_dwordx8 s[8:15], s[4:5], 0x0
	s_load_dwordx2 s[16:17], s[4:5], 0x20
	s_lshl_b32 s5, s6, 8
	s_mov_b32 s19, 0
	s_mov_b32 s18, exec_lo
	s_waitcnt lgkmcnt(0)
	s_and_b32 s0, s0, 0xffff
	v_mad_u32_u24 v14, v1, s0, v0
	v_mov_b32_e32 v0, 0
	s_ashr_i32 s0, s10, 31
	s_lshr_b32 s0, s0, 26
	v_and_b32_e32 v15, 63, v14
	v_lshrrev_b32_e32 v2, 4, v14
	v_mov_b32_e32 v1, v0
	v_mov_b32_e32 v3, v0
	s_add_i32 s11, s10, s0
	v_or_b32_e32 v10, s5, v15
	v_and_b32_e32 v8, 0x7ffffc, v2
	v_mov_b32_e32 v2, v0
	s_andn2_b32 s11, s11, 63
	v_or_b32_e32 v18, 64, v10
	v_or_b32_e32 v17, 0x80, v10
	;; [unrolled: 1-line block ×3, first 2 shown]
	v_cmpx_gt_i32_e64 s11, v8
	s_cbranch_execz .LBB8_28
; %bb.1:
	v_lshrrev_b32_e32 v27, 6, v14
	v_add_nc_u32_e32 v1, s5, v15
	v_cmp_gt_i32_e64 s0, s9, v10
	v_cmp_gt_i32_e64 s1, s9, v18
	;; [unrolled: 1-line block ×3, first 2 shown]
	v_lshlrev_b32_e32 v28, 2, v27
	v_ashrrev_i32_e32 v2, 31, v1
	v_mul_lo_u32 v9, s15, v1
	v_mad_u64_u32 v[3:4], null, s14, v1, 0
	v_or_b32_e32 v7, 3, v28
	v_mul_lo_u32 v12, s14, v2
	v_add_nc_u32_e32 v11, 64, v1
	v_or_b32_e32 v13, 2, v28
	v_lshlrev_b64 v[29:30], 3, v[1:2]
	v_mad_u64_u32 v[5:6], null, s14, v7, 0
	v_ashrrev_i32_e32 v23, 31, v11
	v_mad_u64_u32 v[21:22], null, s14, v13, 0
	v_add3_u32 v4, v4, v12, v9
	v_mul_lo_u32 v25, s15, v11
	v_mad_u64_u32 v[19:20], null, s14, v11, 0
	v_mov_b32_e32 v2, v6
	v_lshlrev_b32_e32 v31, 5, v27
	v_add_nc_u32_e32 v32, 0x80, v1
	v_cmp_gt_i32_e64 s3, s9, v16
	s_cmp_lg_u32 s8, 1
	v_mad_u64_u32 v[6:7], null, s15, v7, v[2:3]
	v_mul_lo_u32 v7, s14, v23
	v_lshlrev_b64 v[3:4], 3, v[3:4]
	v_mov_b32_e32 v2, v22
	v_mad_u64_u32 v[23:24], null, s14, v28, s[14:15]
	v_ashrrev_i32_e32 v33, 31, v32
	v_lshlrev_b64 v[5:6], 3, v[5:6]
	v_add_co_u32 v9, vcc_lo, v3, v31
	v_add3_u32 v20, v20, v7, v25
	v_mad_u64_u32 v[25:26], null, s15, v13, v[2:3]
	v_add_co_ci_u32_e64 v11, null, 0, v4, vcc_lo
	v_add_co_u32 v12, vcc_lo, v5, v29
	v_add_co_ci_u32_e64 v13, null, v6, v30, vcc_lo
	v_lshlrev_b64 v[2:3], 3, v[19:20]
	v_mad_u64_u32 v[5:6], null, s14, v32, 0
	v_mov_b32_e32 v22, v25
	v_mul_lo_u32 v7, s14, v33
	v_mov_b32_e32 v4, v24
	v_mul_lo_u32 v26, s15, v32
	v_add_co_u32 v19, vcc_lo, v2, v31
	v_add_co_ci_u32_e64 v20, null, 0, v3, vcc_lo
	v_mad_u64_u32 v[24:25], null, s15, v28, v[4:5]
	v_lshlrev_b64 v[3:4], 3, v[21:22]
	v_add_nc_u32_e32 v25, 0xc0, v1
	v_add3_u32 v6, v6, v7, v26
	v_mad_u64_u32 v[1:2], null, s14, v27, 0
	s_cselect_b32 s20, -1, 0
	v_add_co_u32 v21, vcc_lo, v3, v29
	v_ashrrev_i32_e32 v28, 31, v25
	v_add_co_ci_u32_e64 v22, null, v4, v30, vcc_lo
	v_lshlrev_b64 v[3:4], 3, v[5:6]
	v_mul_lo_u32 v32, s15, v25
	v_mul_lo_u32 v28, s14, v28
	v_mad_u64_u32 v[25:26], null, s14, v25, 0
	s_lshl_b64 s[6:7], s[14:15], 9
	v_mad_u64_u32 v[5:6], null, s15, v27, v[2:3]
	v_lshlrev_b64 v[6:7], 3, v[23:24]
	v_add_co_u32 v23, vcc_lo, v3, v31
	v_add3_u32 v26, v26, v28, v32
	v_add_co_ci_u32_e64 v24, null, 0, v4, vcc_lo
	v_mov_b32_e32 v2, v5
	v_lshlrev_b64 v[3:4], 3, v[25:26]
	v_add_co_u32 v25, vcc_lo, v6, v29
	v_lshlrev_b64 v[1:2], 5, v[1:2]
	v_add_co_ci_u32_e64 v26, null, v7, v30, vcc_lo
	v_add_co_u32 v27, vcc_lo, v3, v31
	v_add_co_ci_u32_e64 v28, null, 0, v4, vcc_lo
	v_add_co_u32 v29, vcc_lo, v1, v29
	v_add_co_ci_u32_e64 v30, null, v2, v30, vcc_lo
	v_mov_b32_e32 v1, v0
	v_mov_b32_e32 v2, v0
	;; [unrolled: 1-line block ×3, first 2 shown]
	s_branch .LBB8_4
.LBB8_2:                                ;   in Loop: Header=BB8_4 Depth=1
	v_mov_b32_e32 v0, v4
	v_mov_b32_e32 v1, v5
	;; [unrolled: 1-line block ×4, first 2 shown]
.LBB8_3:                                ;   in Loop: Header=BB8_4 Depth=1
	s_or_b32 exec_lo, exec_lo, s21
	v_add_co_u32 v9, vcc_lo, 0x200, v9
	v_add_co_ci_u32_e64 v11, null, 0, v11, vcc_lo
	v_add_co_u32 v12, vcc_lo, v12, s6
	v_add_co_ci_u32_e64 v13, null, s7, v13, vcc_lo
	;; [unrolled: 2-line block ×4, first 2 shown]
	v_add_co_u32 v23, vcc_lo, 0x200, v23
	v_add_nc_u32_e32 v8, 64, v8
	v_add_co_ci_u32_e64 v24, null, 0, v24, vcc_lo
	v_add_co_u32 v25, vcc_lo, v25, s6
	v_add_co_ci_u32_e64 v26, null, s7, v26, vcc_lo
	v_add_co_u32 v27, vcc_lo, 0x200, v27
	v_add_co_ci_u32_e64 v28, null, 0, v28, vcc_lo
	v_cmp_le_i32_e32 vcc_lo, s11, v8
	v_add_co_u32 v29, s4, v29, s6
	v_add_co_ci_u32_e64 v30, null, s7, v30, s4
	s_or_b32 s19, vcc_lo, s19
	s_andn2_b32 exec_lo, exec_lo, s19
	s_cbranch_execz .LBB8_27
.LBB8_4:                                ; =>This Inner Loop Header: Depth=1
	s_and_saveexec_b32 s21, s0
	s_cbranch_execnz .LBB8_8
; %bb.5:                                ;   in Loop: Header=BB8_4 Depth=1
	s_or_b32 exec_lo, exec_lo, s21
	s_and_saveexec_b32 s21, s1
	s_cbranch_execnz .LBB8_13
.LBB8_6:                                ;   in Loop: Header=BB8_4 Depth=1
	s_or_b32 exec_lo, exec_lo, s21
	s_and_saveexec_b32 s21, s2
	s_cbranch_execnz .LBB8_18
.LBB8_7:                                ;   in Loop: Header=BB8_4 Depth=1
	s_or_b32 exec_lo, exec_lo, s21
	s_and_saveexec_b32 s21, s3
	s_cbranch_execz .LBB8_3
	s_branch .LBB8_23
.LBB8_8:                                ;   in Loop: Header=BB8_4 Depth=1
	v_add_nc_u32_e32 v31, 1, v0
	s_andn2_b32 vcc_lo, exec_lo, s20
	s_mov_b32 s4, -1
                                        ; implicit-def: $vgpr4_vgpr5_vgpr6_vgpr7
	s_cbranch_vccnz .LBB8_10
; %bb.9:                                ;   in Loop: Header=BB8_4 Depth=1
	v_add_co_u32 v32, vcc_lo, s12, v9
	v_add_co_ci_u32_e64 v33, null, s13, v11, vcc_lo
	s_clause 0x1
	global_load_dwordx4 v[4:7], v[32:33], off
	global_load_dwordx4 v[32:35], v[32:33], off offset:16
	s_waitcnt vmcnt(1)
	v_cmp_neq_f32_e32 vcc_lo, 0, v4
	v_cmp_neq_f32_e64 s4, 0, v5
	s_or_b32 vcc_lo, vcc_lo, s4
	v_cmp_neq_f32_e64 s4, 0, v7
	v_cndmask_b32_e32 v4, v0, v31, vcc_lo
	v_cmp_neq_f32_e32 vcc_lo, 0, v6
	v_mov_b32_e32 v6, v2
	v_add_nc_u32_e32 v5, 1, v4
	s_or_b32 vcc_lo, vcc_lo, s4
	s_waitcnt vmcnt(0)
	v_cmp_neq_f32_e64 s4, 0, v33
	v_cndmask_b32_e32 v4, v4, v5, vcc_lo
	v_cmp_neq_f32_e32 vcc_lo, 0, v32
	v_add_nc_u32_e32 v5, 1, v4
	s_or_b32 vcc_lo, vcc_lo, s4
	v_cmp_neq_f32_e64 s4, 0, v35
	v_cndmask_b32_e32 v4, v4, v5, vcc_lo
	v_cmp_neq_f32_e32 vcc_lo, 0, v34
	v_mov_b32_e32 v5, v1
	v_add_nc_u32_e32 v7, 1, v4
	s_or_b32 vcc_lo, vcc_lo, s4
	s_mov_b32 s4, 0
	v_cndmask_b32_e32 v4, v4, v7, vcc_lo
	v_mov_b32_e32 v7, v3
.LBB8_10:                               ;   in Loop: Header=BB8_4 Depth=1
	s_andn2_b32 vcc_lo, exec_lo, s4
	s_cbranch_vccnz .LBB8_12
; %bb.11:                               ;   in Loop: Header=BB8_4 Depth=1
	v_add_co_u32 v4, vcc_lo, s12, v29
	v_add_co_ci_u32_e64 v5, null, s13, v30, vcc_lo
	v_add_co_u32 v6, vcc_lo, s12, v25
	v_add_co_ci_u32_e64 v7, null, s13, v26, vcc_lo
	global_load_dwordx2 v[4:5], v[4:5], off
	v_add_co_u32 v32, vcc_lo, s12, v21
	global_load_dwordx2 v[6:7], v[6:7], off
	v_add_co_ci_u32_e64 v33, null, s13, v22, vcc_lo
	v_add_co_u32 v34, vcc_lo, s12, v12
	v_add_co_ci_u32_e64 v35, null, s13, v13, vcc_lo
	s_clause 0x1
	global_load_dwordx2 v[32:33], v[32:33], off
	global_load_dwordx2 v[34:35], v[34:35], off
	s_waitcnt vmcnt(3)
	v_cmp_neq_f32_e32 vcc_lo, 0, v4
	v_cmp_neq_f32_e64 s4, 0, v5
	s_or_b32 vcc_lo, vcc_lo, s4
	s_waitcnt vmcnt(2)
	v_cmp_neq_f32_e64 s4, 0, v7
	v_cndmask_b32_e32 v0, v0, v31, vcc_lo
	v_cmp_neq_f32_e32 vcc_lo, 0, v6
	v_add_nc_u32_e32 v4, 1, v0
	s_or_b32 vcc_lo, vcc_lo, s4
	s_waitcnt vmcnt(1)
	v_cmp_neq_f32_e64 s4, 0, v33
	v_cndmask_b32_e32 v0, v0, v4, vcc_lo
	v_cmp_neq_f32_e32 vcc_lo, 0, v32
	v_add_nc_u32_e32 v4, 1, v0
	;; [unrolled: 6-line block ×3, first 2 shown]
	s_or_b32 vcc_lo, vcc_lo, s4
	v_cndmask_b32_e32 v0, v0, v4, vcc_lo
	v_mov_b32_e32 v7, v3
	v_mov_b32_e32 v6, v2
	;; [unrolled: 1-line block ×4, first 2 shown]
.LBB8_12:                               ;   in Loop: Header=BB8_4 Depth=1
	v_mov_b32_e32 v0, v4
	v_mov_b32_e32 v1, v5
	;; [unrolled: 1-line block ×4, first 2 shown]
	s_or_b32 exec_lo, exec_lo, s21
	s_and_saveexec_b32 s21, s1
	s_cbranch_execz .LBB8_6
.LBB8_13:                               ;   in Loop: Header=BB8_4 Depth=1
	v_add_nc_u32_e32 v31, 1, v1
	s_andn2_b32 vcc_lo, exec_lo, s20
	s_mov_b32 s4, -1
                                        ; implicit-def: $vgpr4_vgpr5_vgpr6_vgpr7
	s_cbranch_vccnz .LBB8_15
; %bb.14:                               ;   in Loop: Header=BB8_4 Depth=1
	v_add_co_u32 v32, vcc_lo, s12, v19
	v_add_co_ci_u32_e64 v33, null, s13, v20, vcc_lo
	s_clause 0x1
	global_load_dwordx4 v[4:7], v[32:33], off
	global_load_dwordx4 v[32:35], v[32:33], off offset:16
	s_waitcnt vmcnt(1)
	v_cmp_neq_f32_e32 vcc_lo, 0, v4
	v_cmp_neq_f32_e64 s4, 0, v5
	s_or_b32 vcc_lo, vcc_lo, s4
	v_cmp_neq_f32_e64 s4, 0, v7
	v_cndmask_b32_e32 v4, v1, v31, vcc_lo
	v_cmp_neq_f32_e32 vcc_lo, 0, v6
	v_mov_b32_e32 v6, v2
	v_add_nc_u32_e32 v5, 1, v4
	s_or_b32 vcc_lo, vcc_lo, s4
	s_waitcnt vmcnt(0)
	v_cmp_neq_f32_e64 s4, 0, v33
	v_cndmask_b32_e32 v4, v4, v5, vcc_lo
	v_cmp_neq_f32_e32 vcc_lo, 0, v32
	v_add_nc_u32_e32 v5, 1, v4
	s_or_b32 vcc_lo, vcc_lo, s4
	v_cmp_neq_f32_e64 s4, 0, v35
	v_cndmask_b32_e32 v5, v4, v5, vcc_lo
	v_cmp_neq_f32_e32 vcc_lo, 0, v34
	v_mov_b32_e32 v4, v0
	v_add_nc_u32_e32 v7, 1, v5
	s_or_b32 vcc_lo, vcc_lo, s4
	s_mov_b32 s4, 0
	v_cndmask_b32_e32 v5, v5, v7, vcc_lo
	v_mov_b32_e32 v7, v3
.LBB8_15:                               ;   in Loop: Header=BB8_4 Depth=1
	s_andn2_b32 vcc_lo, exec_lo, s4
	s_cbranch_vccnz .LBB8_17
; %bb.16:                               ;   in Loop: Header=BB8_4 Depth=1
	v_add_co_u32 v4, vcc_lo, s12, v29
	v_add_co_ci_u32_e64 v5, null, s13, v30, vcc_lo
	v_add_co_u32 v6, vcc_lo, s12, v25
	v_add_co_ci_u32_e64 v7, null, s13, v26, vcc_lo
	global_load_dwordx2 v[4:5], v[4:5], off offset:512
	v_add_co_u32 v32, vcc_lo, s12, v21
	global_load_dwordx2 v[6:7], v[6:7], off offset:512
	v_add_co_ci_u32_e64 v33, null, s13, v22, vcc_lo
	v_add_co_u32 v34, vcc_lo, s12, v12
	v_add_co_ci_u32_e64 v35, null, s13, v13, vcc_lo
	s_clause 0x1
	global_load_dwordx2 v[32:33], v[32:33], off offset:512
	global_load_dwordx2 v[34:35], v[34:35], off offset:512
	s_waitcnt vmcnt(3)
	v_cmp_neq_f32_e32 vcc_lo, 0, v4
	v_cmp_neq_f32_e64 s4, 0, v5
	s_or_b32 vcc_lo, vcc_lo, s4
	s_waitcnt vmcnt(2)
	v_cmp_neq_f32_e64 s4, 0, v7
	v_cndmask_b32_e32 v1, v1, v31, vcc_lo
	v_cmp_neq_f32_e32 vcc_lo, 0, v6
	v_add_nc_u32_e32 v4, 1, v1
	s_or_b32 vcc_lo, vcc_lo, s4
	s_waitcnt vmcnt(1)
	v_cmp_neq_f32_e64 s4, 0, v33
	v_cndmask_b32_e32 v1, v1, v4, vcc_lo
	v_cmp_neq_f32_e32 vcc_lo, 0, v32
	v_add_nc_u32_e32 v4, 1, v1
	;; [unrolled: 6-line block ×3, first 2 shown]
	s_or_b32 vcc_lo, vcc_lo, s4
	v_cndmask_b32_e32 v1, v1, v4, vcc_lo
	v_mov_b32_e32 v7, v3
	v_mov_b32_e32 v6, v2
	;; [unrolled: 1-line block ×4, first 2 shown]
.LBB8_17:                               ;   in Loop: Header=BB8_4 Depth=1
	v_mov_b32_e32 v0, v4
	v_mov_b32_e32 v1, v5
	;; [unrolled: 1-line block ×4, first 2 shown]
	s_or_b32 exec_lo, exec_lo, s21
	s_and_saveexec_b32 s21, s2
	s_cbranch_execz .LBB8_7
.LBB8_18:                               ;   in Loop: Header=BB8_4 Depth=1
	v_add_nc_u32_e32 v31, 1, v2
	s_andn2_b32 vcc_lo, exec_lo, s20
	s_mov_b32 s4, -1
                                        ; implicit-def: $vgpr4_vgpr5_vgpr6_vgpr7
	s_cbranch_vccnz .LBB8_20
; %bb.19:                               ;   in Loop: Header=BB8_4 Depth=1
	v_add_co_u32 v32, vcc_lo, s12, v23
	v_add_co_ci_u32_e64 v33, null, s13, v24, vcc_lo
	s_clause 0x1
	global_load_dwordx4 v[4:7], v[32:33], off
	global_load_dwordx4 v[32:35], v[32:33], off offset:16
	s_waitcnt vmcnt(1)
	v_cmp_neq_f32_e32 vcc_lo, 0, v4
	v_cmp_neq_f32_e64 s4, 0, v5
	s_or_b32 vcc_lo, vcc_lo, s4
	v_cmp_neq_f32_e64 s4, 0, v7
	v_cndmask_b32_e32 v4, v2, v31, vcc_lo
	v_cmp_neq_f32_e32 vcc_lo, 0, v6
	v_add_nc_u32_e32 v5, 1, v4
	s_or_b32 vcc_lo, vcc_lo, s4
	s_waitcnt vmcnt(0)
	v_cmp_neq_f32_e64 s4, 0, v33
	v_cndmask_b32_e32 v4, v4, v5, vcc_lo
	v_cmp_neq_f32_e32 vcc_lo, 0, v32
	v_add_nc_u32_e32 v5, 1, v4
	s_or_b32 vcc_lo, vcc_lo, s4
	v_cmp_neq_f32_e64 s4, 0, v35
	v_cndmask_b32_e32 v6, v4, v5, vcc_lo
	v_cmp_neq_f32_e32 vcc_lo, 0, v34
	v_mov_b32_e32 v4, v0
	v_mov_b32_e32 v5, v1
	v_add_nc_u32_e32 v7, 1, v6
	s_or_b32 vcc_lo, vcc_lo, s4
	s_mov_b32 s4, 0
	v_cndmask_b32_e32 v6, v6, v7, vcc_lo
	v_mov_b32_e32 v7, v3
.LBB8_20:                               ;   in Loop: Header=BB8_4 Depth=1
	s_andn2_b32 vcc_lo, exec_lo, s4
	s_cbranch_vccnz .LBB8_22
; %bb.21:                               ;   in Loop: Header=BB8_4 Depth=1
	v_add_co_u32 v4, vcc_lo, s12, v29
	v_add_co_ci_u32_e64 v5, null, s13, v30, vcc_lo
	v_add_co_u32 v6, vcc_lo, s12, v25
	v_add_co_ci_u32_e64 v7, null, s13, v26, vcc_lo
	global_load_dwordx2 v[4:5], v[4:5], off offset:1024
	v_add_co_u32 v32, vcc_lo, s12, v21
	global_load_dwordx2 v[6:7], v[6:7], off offset:1024
	v_add_co_ci_u32_e64 v33, null, s13, v22, vcc_lo
	v_add_co_u32 v34, vcc_lo, s12, v12
	v_add_co_ci_u32_e64 v35, null, s13, v13, vcc_lo
	s_clause 0x1
	global_load_dwordx2 v[32:33], v[32:33], off offset:1024
	global_load_dwordx2 v[34:35], v[34:35], off offset:1024
	s_waitcnt vmcnt(3)
	v_cmp_neq_f32_e32 vcc_lo, 0, v4
	v_cmp_neq_f32_e64 s4, 0, v5
	s_or_b32 vcc_lo, vcc_lo, s4
	s_waitcnt vmcnt(2)
	v_cmp_neq_f32_e64 s4, 0, v7
	v_cndmask_b32_e32 v2, v2, v31, vcc_lo
	v_cmp_neq_f32_e32 vcc_lo, 0, v6
	v_add_nc_u32_e32 v4, 1, v2
	s_or_b32 vcc_lo, vcc_lo, s4
	s_waitcnt vmcnt(1)
	v_cmp_neq_f32_e64 s4, 0, v33
	v_cndmask_b32_e32 v2, v2, v4, vcc_lo
	v_cmp_neq_f32_e32 vcc_lo, 0, v32
	v_add_nc_u32_e32 v4, 1, v2
	;; [unrolled: 6-line block ×3, first 2 shown]
	s_or_b32 vcc_lo, vcc_lo, s4
	v_cndmask_b32_e32 v2, v2, v4, vcc_lo
	v_mov_b32_e32 v7, v3
	v_mov_b32_e32 v5, v1
	;; [unrolled: 1-line block ×4, first 2 shown]
.LBB8_22:                               ;   in Loop: Header=BB8_4 Depth=1
	v_mov_b32_e32 v0, v4
	v_mov_b32_e32 v1, v5
	;; [unrolled: 1-line block ×4, first 2 shown]
	s_or_b32 exec_lo, exec_lo, s21
	s_and_saveexec_b32 s21, s3
	s_cbranch_execz .LBB8_3
.LBB8_23:                               ;   in Loop: Header=BB8_4 Depth=1
	v_add_nc_u32_e32 v31, 1, v3
	s_andn2_b32 vcc_lo, exec_lo, s20
	s_mov_b32 s4, -1
                                        ; implicit-def: $vgpr4_vgpr5_vgpr6_vgpr7
	s_cbranch_vccnz .LBB8_25
; %bb.24:                               ;   in Loop: Header=BB8_4 Depth=1
	v_add_co_u32 v32, vcc_lo, s12, v27
	v_add_co_ci_u32_e64 v33, null, s13, v28, vcc_lo
	s_clause 0x1
	global_load_dwordx4 v[4:7], v[32:33], off
	global_load_dwordx4 v[32:35], v[32:33], off offset:16
	s_waitcnt vmcnt(1)
	v_cmp_neq_f32_e32 vcc_lo, 0, v4
	v_cmp_neq_f32_e64 s4, 0, v5
	s_or_b32 vcc_lo, vcc_lo, s4
	v_cmp_neq_f32_e64 s4, 0, v7
	v_cndmask_b32_e32 v4, v3, v31, vcc_lo
	v_cmp_neq_f32_e32 vcc_lo, 0, v6
	v_add_nc_u32_e32 v5, 1, v4
	s_or_b32 vcc_lo, vcc_lo, s4
	s_waitcnt vmcnt(0)
	v_cmp_neq_f32_e64 s4, 0, v33
	v_cndmask_b32_e32 v4, v4, v5, vcc_lo
	v_cmp_neq_f32_e32 vcc_lo, 0, v32
	v_add_nc_u32_e32 v5, 1, v4
	s_or_b32 vcc_lo, vcc_lo, s4
	v_cmp_neq_f32_e64 s4, 0, v35
	v_cndmask_b32_e32 v6, v4, v5, vcc_lo
	v_cmp_neq_f32_e32 vcc_lo, 0, v34
	v_mov_b32_e32 v4, v0
	v_mov_b32_e32 v5, v1
	v_add_nc_u32_e32 v7, 1, v6
	s_or_b32 vcc_lo, vcc_lo, s4
	s_mov_b32 s4, 0
	v_cndmask_b32_e32 v7, v6, v7, vcc_lo
	v_mov_b32_e32 v6, v2
.LBB8_25:                               ;   in Loop: Header=BB8_4 Depth=1
	s_andn2_b32 vcc_lo, exec_lo, s4
	s_cbranch_vccnz .LBB8_2
; %bb.26:                               ;   in Loop: Header=BB8_4 Depth=1
	v_add_co_u32 v4, vcc_lo, s12, v29
	v_add_co_ci_u32_e64 v5, null, s13, v30, vcc_lo
	v_add_co_u32 v6, vcc_lo, s12, v25
	v_add_co_ci_u32_e64 v7, null, s13, v26, vcc_lo
	global_load_dwordx2 v[4:5], v[4:5], off offset:1536
	v_add_co_u32 v32, vcc_lo, s12, v21
	global_load_dwordx2 v[6:7], v[6:7], off offset:1536
	v_add_co_ci_u32_e64 v33, null, s13, v22, vcc_lo
	v_add_co_u32 v34, vcc_lo, s12, v12
	v_add_co_ci_u32_e64 v35, null, s13, v13, vcc_lo
	s_clause 0x1
	global_load_dwordx2 v[32:33], v[32:33], off offset:1536
	global_load_dwordx2 v[34:35], v[34:35], off offset:1536
	s_waitcnt vmcnt(3)
	v_cmp_neq_f32_e32 vcc_lo, 0, v4
	v_cmp_neq_f32_e64 s4, 0, v5
	s_or_b32 vcc_lo, vcc_lo, s4
	s_waitcnt vmcnt(2)
	v_cmp_neq_f32_e64 s4, 0, v7
	v_cndmask_b32_e32 v3, v3, v31, vcc_lo
	v_cmp_neq_f32_e32 vcc_lo, 0, v6
	v_add_nc_u32_e32 v4, 1, v3
	s_or_b32 vcc_lo, vcc_lo, s4
	s_waitcnt vmcnt(1)
	v_cmp_neq_f32_e64 s4, 0, v33
	v_cndmask_b32_e32 v3, v3, v4, vcc_lo
	v_cmp_neq_f32_e32 vcc_lo, 0, v32
	v_add_nc_u32_e32 v4, 1, v3
	;; [unrolled: 6-line block ×3, first 2 shown]
	s_or_b32 vcc_lo, vcc_lo, s4
	v_cndmask_b32_e32 v3, v3, v4, vcc_lo
	v_mov_b32_e32 v7, v3
	v_mov_b32_e32 v6, v2
	;; [unrolled: 1-line block ×4, first 2 shown]
	s_branch .LBB8_2
.LBB8_27:
	s_or_b32 exec_lo, exec_lo, s19
.LBB8_28:
	s_or_b32 exec_lo, exec_lo, s18
	s_sub_i32 s0, s10, s11
	s_cmp_lt_i32 s0, 1
	s_cbranch_scc1 .LBB8_126
; %bb.29:
	v_mov_b32_e32 v9, 0
	s_cmp_eq_u32 s8, 1
	v_ashrrev_i32_e32 v11, 31, v10
	s_cselect_b32 s2, -1, 0
	s_cmp_lg_u32 s8, 1
	v_lshlrev_b64 v[4:5], 3, v[8:9]
	s_cselect_b32 s1, -1, 0
	s_mov_b32 s3, exec_lo
	v_add_co_u32 v9, s0, s12, v4
	v_add_co_ci_u32_e64 v19, null, s13, v5, s0
	v_cmpx_gt_i32_e64 s9, v10
	s_cbranch_execnz .LBB8_33
; %bb.30:
	s_or_b32 exec_lo, exec_lo, s3
	s_mov_b32 s3, exec_lo
	v_cmpx_gt_i32_e64 s9, v18
	s_cbranch_execnz .LBB8_56
.LBB8_31:
	s_or_b32 exec_lo, exec_lo, s3
	s_mov_b32 s3, exec_lo
	v_cmpx_gt_i32_e64 s9, v17
	s_cbranch_execnz .LBB8_79
.LBB8_32:
	s_or_b32 exec_lo, exec_lo, s3
	s_mov_b32 s3, exec_lo
	v_cmpx_gt_i32_e64 s9, v16
	s_cbranch_execnz .LBB8_102
	s_branch .LBB8_125
.LBB8_33:
	v_mul_lo_u32 v6, s15, v10
	v_mul_lo_u32 v7, s14, v11
	v_mad_u64_u32 v[4:5], null, s14, v10, 0
	s_mov_b32 s4, exec_lo
	v_add3_u32 v5, v5, v7, v6
	v_lshlrev_b64 v[6:7], 3, v[10:11]
	v_lshlrev_b64 v[4:5], 3, v[4:5]
	v_add_co_u32 v20, vcc_lo, s12, v6
	v_add_co_ci_u32_e64 v21, null, s13, v7, vcc_lo
	v_add_co_u32 v12, vcc_lo, v9, v4
	v_add_co_ci_u32_e64 v13, null, v19, v5, vcc_lo
	v_cmpx_gt_i32_e64 s10, v8
	s_cbranch_execz .LBB8_37
; %bb.34:
	v_mov_b32_e32 v4, v12
	v_mov_b32_e32 v5, v13
	s_andn2_b32 vcc_lo, exec_lo, s2
	s_cbranch_vccnz .LBB8_36
; %bb.35:
	v_mad_u64_u32 v[4:5], null, s14, v8, 0
	v_mad_u64_u32 v[5:6], null, s15, v8, v[5:6]
	v_lshlrev_b64 v[4:5], 3, v[4:5]
	v_add_co_u32 v4, vcc_lo, v20, v4
	v_add_co_ci_u32_e64 v5, null, v21, v5, vcc_lo
.LBB8_36:
	global_load_dwordx2 v[4:5], v[4:5], off
	s_waitcnt vmcnt(0)
	v_cmp_neq_f32_e32 vcc_lo, 0, v4
	v_cmp_neq_f32_e64 s0, 0, v5
	s_or_b32 vcc_lo, vcc_lo, s0
	v_add_co_ci_u32_e64 v0, null, 0, v0, vcc_lo
.LBB8_37:
	s_or_b32 exec_lo, exec_lo, s4
	v_or_b32_e32 v22, 1, v8
	s_mov_b32 s4, exec_lo
	v_cmpx_gt_i32_e64 s10, v22
	s_cbranch_execz .LBB8_43
; %bb.38:
	s_andn2_b32 vcc_lo, exec_lo, s1
	s_cbranch_vccnz .LBB8_40
; %bb.39:
	global_load_dwordx2 v[4:5], v[12:13], off offset:8
	s_waitcnt vmcnt(0)
	v_cmp_neq_f32_e32 vcc_lo, 0, v4
	v_cmp_neq_f32_e64 s0, 0, v5
	v_mov_b32_e32 v7, v3
	v_mov_b32_e32 v4, v0
	v_mov_b32_e32 v6, v2
	v_mov_b32_e32 v5, v1
	s_or_b32 vcc_lo, vcc_lo, s0
	v_add_co_ci_u32_e64 v23, null, 0, v0, vcc_lo
	v_mov_b32_e32 v4, v23
	s_cbranch_execz .LBB8_41
	s_branch .LBB8_42
.LBB8_40:
                                        ; implicit-def: $vgpr4_vgpr5_vgpr6_vgpr7
.LBB8_41:
	v_mad_u64_u32 v[4:5], null, s14, v22, 0
	v_mad_u64_u32 v[5:6], null, s15, v22, v[5:6]
	v_lshlrev_b64 v[4:5], 3, v[4:5]
	v_add_co_u32 v4, vcc_lo, v20, v4
	v_add_co_ci_u32_e64 v5, null, v21, v5, vcc_lo
	global_load_dwordx2 v[4:5], v[4:5], off
	s_waitcnt vmcnt(0)
	v_cmp_neq_f32_e32 vcc_lo, 0, v4
	v_cmp_neq_f32_e64 s0, 0, v5
	s_or_b32 vcc_lo, vcc_lo, s0
	v_add_co_ci_u32_e64 v0, null, 0, v0, vcc_lo
	v_mov_b32_e32 v7, v3
	v_mov_b32_e32 v6, v2
	v_mov_b32_e32 v5, v1
	v_mov_b32_e32 v4, v0
.LBB8_42:
	v_mov_b32_e32 v0, v4
	v_mov_b32_e32 v1, v5
	v_mov_b32_e32 v2, v6
	v_mov_b32_e32 v3, v7
.LBB8_43:
	s_or_b32 exec_lo, exec_lo, s4
	v_or_b32_e32 v22, 2, v8
	s_mov_b32 s4, exec_lo
	v_cmpx_gt_i32_e64 s10, v22
	s_cbranch_execz .LBB8_49
; %bb.44:
	s_andn2_b32 vcc_lo, exec_lo, s1
	s_cbranch_vccnz .LBB8_46
; %bb.45:
	global_load_dwordx2 v[4:5], v[12:13], off offset:16
	s_waitcnt vmcnt(0)
	v_cmp_neq_f32_e32 vcc_lo, 0, v4
	v_cmp_neq_f32_e64 s0, 0, v5
	v_mov_b32_e32 v7, v3
	v_mov_b32_e32 v4, v0
	v_mov_b32_e32 v6, v2
	v_mov_b32_e32 v5, v1
	s_or_b32 vcc_lo, vcc_lo, s0
	v_add_co_ci_u32_e64 v23, null, 0, v0, vcc_lo
	v_mov_b32_e32 v4, v23
	s_cbranch_execz .LBB8_47
	s_branch .LBB8_48
.LBB8_46:
                                        ; implicit-def: $vgpr4_vgpr5_vgpr6_vgpr7
.LBB8_47:
	v_mad_u64_u32 v[4:5], null, s14, v22, 0
	v_mad_u64_u32 v[5:6], null, s15, v22, v[5:6]
	v_lshlrev_b64 v[4:5], 3, v[4:5]
	v_add_co_u32 v4, vcc_lo, v20, v4
	v_add_co_ci_u32_e64 v5, null, v21, v5, vcc_lo
	global_load_dwordx2 v[4:5], v[4:5], off
	s_waitcnt vmcnt(0)
	v_cmp_neq_f32_e32 vcc_lo, 0, v4
	v_cmp_neq_f32_e64 s0, 0, v5
	s_or_b32 vcc_lo, vcc_lo, s0
	v_add_co_ci_u32_e64 v0, null, 0, v0, vcc_lo
	v_mov_b32_e32 v7, v3
	v_mov_b32_e32 v6, v2
	v_mov_b32_e32 v5, v1
	v_mov_b32_e32 v4, v0
.LBB8_48:
	v_mov_b32_e32 v0, v4
	v_mov_b32_e32 v1, v5
	v_mov_b32_e32 v2, v6
	v_mov_b32_e32 v3, v7
.LBB8_49:
	;; [unrolled: 46-line block ×3, first 2 shown]
	s_or_b32 exec_lo, exec_lo, s4
	s_or_b32 exec_lo, exec_lo, s3
	s_mov_b32 s3, exec_lo
	v_cmpx_gt_i32_e64 s9, v18
	s_cbranch_execz .LBB8_31
.LBB8_56:
	v_ashrrev_i32_e32 v6, 31, v18
	v_mul_lo_u32 v7, s15, v18
	v_mad_u64_u32 v[4:5], null, s14, v18, 0
	s_mov_b32 s4, exec_lo
	v_mul_lo_u32 v6, s14, v6
	v_add3_u32 v5, v5, v6, v7
	v_lshlrev_b64 v[6:7], 3, v[10:11]
	v_lshlrev_b64 v[4:5], 3, v[4:5]
	v_add_co_u32 v18, vcc_lo, s12, v6
	v_add_co_ci_u32_e64 v20, null, s13, v7, vcc_lo
	v_add_co_u32 v12, vcc_lo, v9, v4
	v_add_co_ci_u32_e64 v13, null, v19, v5, vcc_lo
	v_cmpx_gt_i32_e64 s10, v8
	s_cbranch_execz .LBB8_60
; %bb.57:
	v_mov_b32_e32 v4, v12
	v_mov_b32_e32 v5, v13
	s_andn2_b32 vcc_lo, exec_lo, s2
	s_cbranch_vccnz .LBB8_59
; %bb.58:
	v_mad_u64_u32 v[4:5], null, s14, v8, 0
	v_mad_u64_u32 v[5:6], null, s15, v8, v[5:6]
	v_lshlrev_b64 v[4:5], 3, v[4:5]
	v_add_co_u32 v4, vcc_lo, v18, v4
	v_add_co_ci_u32_e64 v5, null, v20, v5, vcc_lo
	v_add_co_u32 v4, vcc_lo, 0x200, v4
	v_add_co_ci_u32_e64 v5, null, 0, v5, vcc_lo
.LBB8_59:
	global_load_dwordx2 v[4:5], v[4:5], off
	s_waitcnt vmcnt(0)
	v_cmp_neq_f32_e32 vcc_lo, 0, v4
	v_cmp_neq_f32_e64 s0, 0, v5
	s_or_b32 vcc_lo, vcc_lo, s0
	v_add_co_ci_u32_e64 v1, null, 0, v1, vcc_lo
.LBB8_60:
	s_or_b32 exec_lo, exec_lo, s4
	v_or_b32_e32 v21, 1, v8
	s_mov_b32 s4, exec_lo
	v_cmpx_gt_i32_e64 s10, v21
	s_cbranch_execz .LBB8_66
; %bb.61:
	s_andn2_b32 vcc_lo, exec_lo, s1
	s_cbranch_vccnz .LBB8_63
; %bb.62:
	global_load_dwordx2 v[4:5], v[12:13], off offset:8
	s_waitcnt vmcnt(0)
	v_cmp_neq_f32_e32 vcc_lo, 0, v4
	v_cmp_neq_f32_e64 s0, 0, v5
	v_mov_b32_e32 v7, v3
	v_mov_b32_e32 v5, v1
	v_mov_b32_e32 v6, v2
	v_mov_b32_e32 v4, v0
	s_or_b32 vcc_lo, vcc_lo, s0
	v_add_co_ci_u32_e64 v22, null, 0, v1, vcc_lo
	v_mov_b32_e32 v5, v22
	s_cbranch_execz .LBB8_64
	s_branch .LBB8_65
.LBB8_63:
                                        ; implicit-def: $vgpr4_vgpr5_vgpr6_vgpr7
.LBB8_64:
	v_mad_u64_u32 v[4:5], null, s14, v21, 0
	v_mad_u64_u32 v[5:6], null, s15, v21, v[5:6]
	v_lshlrev_b64 v[4:5], 3, v[4:5]
	v_add_co_u32 v4, vcc_lo, v18, v4
	v_add_co_ci_u32_e64 v5, null, v20, v5, vcc_lo
	global_load_dwordx2 v[4:5], v[4:5], off offset:512
	s_waitcnt vmcnt(0)
	v_cmp_neq_f32_e32 vcc_lo, 0, v4
	v_cmp_neq_f32_e64 s0, 0, v5
	s_or_b32 vcc_lo, vcc_lo, s0
	v_add_co_ci_u32_e64 v1, null, 0, v1, vcc_lo
	v_mov_b32_e32 v7, v3
	v_mov_b32_e32 v6, v2
	v_mov_b32_e32 v4, v0
	v_mov_b32_e32 v5, v1
.LBB8_65:
	v_mov_b32_e32 v0, v4
	v_mov_b32_e32 v1, v5
	v_mov_b32_e32 v2, v6
	v_mov_b32_e32 v3, v7
.LBB8_66:
	s_or_b32 exec_lo, exec_lo, s4
	v_or_b32_e32 v21, 2, v8
	s_mov_b32 s4, exec_lo
	v_cmpx_gt_i32_e64 s10, v21
	s_cbranch_execz .LBB8_72
; %bb.67:
	s_andn2_b32 vcc_lo, exec_lo, s1
	s_cbranch_vccnz .LBB8_69
; %bb.68:
	global_load_dwordx2 v[4:5], v[12:13], off offset:16
	s_waitcnt vmcnt(0)
	v_cmp_neq_f32_e32 vcc_lo, 0, v4
	v_cmp_neq_f32_e64 s0, 0, v5
	v_mov_b32_e32 v7, v3
	v_mov_b32_e32 v5, v1
	v_mov_b32_e32 v6, v2
	v_mov_b32_e32 v4, v0
	s_or_b32 vcc_lo, vcc_lo, s0
	v_add_co_ci_u32_e64 v22, null, 0, v1, vcc_lo
	v_mov_b32_e32 v5, v22
	s_cbranch_execz .LBB8_70
	s_branch .LBB8_71
.LBB8_69:
                                        ; implicit-def: $vgpr4_vgpr5_vgpr6_vgpr7
.LBB8_70:
	v_mad_u64_u32 v[4:5], null, s14, v21, 0
	v_mad_u64_u32 v[5:6], null, s15, v21, v[5:6]
	v_lshlrev_b64 v[4:5], 3, v[4:5]
	v_add_co_u32 v4, vcc_lo, v18, v4
	v_add_co_ci_u32_e64 v5, null, v20, v5, vcc_lo
	global_load_dwordx2 v[4:5], v[4:5], off offset:512
	s_waitcnt vmcnt(0)
	v_cmp_neq_f32_e32 vcc_lo, 0, v4
	v_cmp_neq_f32_e64 s0, 0, v5
	s_or_b32 vcc_lo, vcc_lo, s0
	v_add_co_ci_u32_e64 v1, null, 0, v1, vcc_lo
	v_mov_b32_e32 v7, v3
	v_mov_b32_e32 v6, v2
	v_mov_b32_e32 v4, v0
	v_mov_b32_e32 v5, v1
.LBB8_71:
	v_mov_b32_e32 v0, v4
	v_mov_b32_e32 v1, v5
	v_mov_b32_e32 v2, v6
	v_mov_b32_e32 v3, v7
.LBB8_72:
	;; [unrolled: 46-line block ×3, first 2 shown]
	s_or_b32 exec_lo, exec_lo, s4
	s_or_b32 exec_lo, exec_lo, s3
	s_mov_b32 s3, exec_lo
	v_cmpx_gt_i32_e64 s9, v17
	s_cbranch_execz .LBB8_32
.LBB8_79:
	v_ashrrev_i32_e32 v6, 31, v17
	v_mul_lo_u32 v7, s15, v17
	v_mad_u64_u32 v[4:5], null, s14, v17, 0
	s_mov_b32 s4, exec_lo
	v_mul_lo_u32 v6, s14, v6
	v_add3_u32 v5, v5, v6, v7
	v_lshlrev_b64 v[6:7], 3, v[10:11]
	v_lshlrev_b64 v[4:5], 3, v[4:5]
	v_add_co_u32 v17, vcc_lo, s12, v6
	v_add_co_ci_u32_e64 v18, null, s13, v7, vcc_lo
	v_add_co_u32 v12, vcc_lo, v9, v4
	v_add_co_ci_u32_e64 v13, null, v19, v5, vcc_lo
	v_cmpx_gt_i32_e64 s10, v8
	s_cbranch_execz .LBB8_83
; %bb.80:
	v_mov_b32_e32 v4, v12
	v_mov_b32_e32 v5, v13
	s_andn2_b32 vcc_lo, exec_lo, s2
	s_cbranch_vccnz .LBB8_82
; %bb.81:
	v_mad_u64_u32 v[4:5], null, s14, v8, 0
	v_mad_u64_u32 v[5:6], null, s15, v8, v[5:6]
	v_lshlrev_b64 v[4:5], 3, v[4:5]
	v_add_co_u32 v4, vcc_lo, v17, v4
	v_add_co_ci_u32_e64 v5, null, v18, v5, vcc_lo
	v_add_co_u32 v4, vcc_lo, 0x400, v4
	v_add_co_ci_u32_e64 v5, null, 0, v5, vcc_lo
.LBB8_82:
	global_load_dwordx2 v[4:5], v[4:5], off
	s_waitcnt vmcnt(0)
	v_cmp_neq_f32_e32 vcc_lo, 0, v4
	v_cmp_neq_f32_e64 s0, 0, v5
	s_or_b32 vcc_lo, vcc_lo, s0
	v_add_co_ci_u32_e64 v2, null, 0, v2, vcc_lo
.LBB8_83:
	s_or_b32 exec_lo, exec_lo, s4
	v_or_b32_e32 v20, 1, v8
	s_mov_b32 s4, exec_lo
	v_cmpx_gt_i32_e64 s10, v20
	s_cbranch_execz .LBB8_89
; %bb.84:
	s_andn2_b32 vcc_lo, exec_lo, s1
	s_cbranch_vccnz .LBB8_86
; %bb.85:
	global_load_dwordx2 v[4:5], v[12:13], off offset:8
	s_waitcnt vmcnt(0)
	v_cmp_neq_f32_e32 vcc_lo, 0, v4
	v_cmp_neq_f32_e64 s0, 0, v5
	v_mov_b32_e32 v7, v3
	v_mov_b32_e32 v6, v2
	v_mov_b32_e32 v5, v1
	v_mov_b32_e32 v4, v0
	s_or_b32 vcc_lo, vcc_lo, s0
	v_add_co_ci_u32_e64 v21, null, 0, v2, vcc_lo
	v_mov_b32_e32 v6, v21
	s_cbranch_execz .LBB8_87
	s_branch .LBB8_88
.LBB8_86:
                                        ; implicit-def: $vgpr4_vgpr5_vgpr6_vgpr7
.LBB8_87:
	v_mad_u64_u32 v[4:5], null, s14, v20, 0
	v_mad_u64_u32 v[5:6], null, s15, v20, v[5:6]
	v_lshlrev_b64 v[4:5], 3, v[4:5]
	v_add_co_u32 v4, vcc_lo, v17, v4
	v_add_co_ci_u32_e64 v5, null, v18, v5, vcc_lo
	global_load_dwordx2 v[4:5], v[4:5], off offset:1024
	s_waitcnt vmcnt(0)
	v_cmp_neq_f32_e32 vcc_lo, 0, v4
	v_cmp_neq_f32_e64 s0, 0, v5
	s_or_b32 vcc_lo, vcc_lo, s0
	v_add_co_ci_u32_e64 v2, null, 0, v2, vcc_lo
	v_mov_b32_e32 v7, v3
	v_mov_b32_e32 v5, v1
	v_mov_b32_e32 v4, v0
	v_mov_b32_e32 v6, v2
.LBB8_88:
	v_mov_b32_e32 v0, v4
	v_mov_b32_e32 v1, v5
	v_mov_b32_e32 v2, v6
	v_mov_b32_e32 v3, v7
.LBB8_89:
	s_or_b32 exec_lo, exec_lo, s4
	v_or_b32_e32 v20, 2, v8
	s_mov_b32 s4, exec_lo
	v_cmpx_gt_i32_e64 s10, v20
	s_cbranch_execz .LBB8_95
; %bb.90:
	s_andn2_b32 vcc_lo, exec_lo, s1
	s_cbranch_vccnz .LBB8_92
; %bb.91:
	global_load_dwordx2 v[4:5], v[12:13], off offset:16
	s_waitcnt vmcnt(0)
	v_cmp_neq_f32_e32 vcc_lo, 0, v4
	v_cmp_neq_f32_e64 s0, 0, v5
	v_mov_b32_e32 v7, v3
	v_mov_b32_e32 v6, v2
	v_mov_b32_e32 v5, v1
	v_mov_b32_e32 v4, v0
	s_or_b32 vcc_lo, vcc_lo, s0
	v_add_co_ci_u32_e64 v21, null, 0, v2, vcc_lo
	v_mov_b32_e32 v6, v21
	s_cbranch_execz .LBB8_93
	s_branch .LBB8_94
.LBB8_92:
                                        ; implicit-def: $vgpr4_vgpr5_vgpr6_vgpr7
.LBB8_93:
	v_mad_u64_u32 v[4:5], null, s14, v20, 0
	v_mad_u64_u32 v[5:6], null, s15, v20, v[5:6]
	v_lshlrev_b64 v[4:5], 3, v[4:5]
	v_add_co_u32 v4, vcc_lo, v17, v4
	v_add_co_ci_u32_e64 v5, null, v18, v5, vcc_lo
	global_load_dwordx2 v[4:5], v[4:5], off offset:1024
	s_waitcnt vmcnt(0)
	v_cmp_neq_f32_e32 vcc_lo, 0, v4
	v_cmp_neq_f32_e64 s0, 0, v5
	s_or_b32 vcc_lo, vcc_lo, s0
	v_add_co_ci_u32_e64 v2, null, 0, v2, vcc_lo
	v_mov_b32_e32 v7, v3
	v_mov_b32_e32 v5, v1
	v_mov_b32_e32 v4, v0
	v_mov_b32_e32 v6, v2
.LBB8_94:
	v_mov_b32_e32 v0, v4
	v_mov_b32_e32 v1, v5
	v_mov_b32_e32 v2, v6
	v_mov_b32_e32 v3, v7
.LBB8_95:
	s_or_b32 exec_lo, exec_lo, s4
	v_or_b32_e32 v20, 3, v8
	s_mov_b32 s4, exec_lo
	v_cmpx_gt_i32_e64 s10, v20
	s_cbranch_execz .LBB8_101
; %bb.96:
	s_andn2_b32 vcc_lo, exec_lo, s1
	s_cbranch_vccnz .LBB8_98
; %bb.97:
	global_load_dwordx2 v[4:5], v[12:13], off offset:24
	s_waitcnt vmcnt(0)
	v_cmp_neq_f32_e32 vcc_lo, 0, v4
	v_cmp_neq_f32_e64 s0, 0, v5
	v_mov_b32_e32 v7, v3
	v_mov_b32_e32 v6, v2
	v_mov_b32_e32 v5, v1
	v_mov_b32_e32 v4, v0
	s_or_b32 vcc_lo, vcc_lo, s0
	v_add_co_ci_u32_e64 v12, null, 0, v2, vcc_lo
	v_mov_b32_e32 v6, v12
	s_cbranch_execz .LBB8_99
	s_branch .LBB8_100
.LBB8_98:
                                        ; implicit-def: $vgpr4_vgpr5_vgpr6_vgpr7
.LBB8_99:
	v_mad_u64_u32 v[4:5], null, s14, v20, 0
	v_mad_u64_u32 v[5:6], null, s15, v20, v[5:6]
	v_lshlrev_b64 v[4:5], 3, v[4:5]
	v_add_co_u32 v4, vcc_lo, v17, v4
	v_add_co_ci_u32_e64 v5, null, v18, v5, vcc_lo
	global_load_dwordx2 v[4:5], v[4:5], off offset:1024
	s_waitcnt vmcnt(0)
	v_cmp_neq_f32_e32 vcc_lo, 0, v4
	v_cmp_neq_f32_e64 s0, 0, v5
	s_or_b32 vcc_lo, vcc_lo, s0
	v_add_co_ci_u32_e64 v2, null, 0, v2, vcc_lo
	v_mov_b32_e32 v7, v3
	v_mov_b32_e32 v5, v1
	v_mov_b32_e32 v4, v0
	v_mov_b32_e32 v6, v2
.LBB8_100:
	v_mov_b32_e32 v0, v4
	v_mov_b32_e32 v1, v5
	v_mov_b32_e32 v2, v6
	v_mov_b32_e32 v3, v7
.LBB8_101:
	s_or_b32 exec_lo, exec_lo, s4
	s_or_b32 exec_lo, exec_lo, s3
	s_mov_b32 s3, exec_lo
	v_cmpx_gt_i32_e64 s9, v16
	s_cbranch_execz .LBB8_125
.LBB8_102:
	v_ashrrev_i32_e32 v6, 31, v16
	v_mul_lo_u32 v7, s15, v16
	v_mad_u64_u32 v[4:5], null, s14, v16, 0
	s_mov_b32 s4, exec_lo
	v_mul_lo_u32 v6, s14, v6
	v_add3_u32 v5, v5, v6, v7
	v_lshlrev_b64 v[6:7], 3, v[10:11]
	v_lshlrev_b64 v[4:5], 3, v[4:5]
	v_add_co_u32 v11, vcc_lo, s12, v6
	v_add_co_ci_u32_e64 v12, null, s13, v7, vcc_lo
	v_add_co_u32 v9, vcc_lo, v9, v4
	v_add_co_ci_u32_e64 v10, null, v19, v5, vcc_lo
	v_cmpx_gt_i32_e64 s10, v8
	s_cbranch_execz .LBB8_106
; %bb.103:
	v_mov_b32_e32 v4, v9
	v_mov_b32_e32 v5, v10
	s_andn2_b32 vcc_lo, exec_lo, s2
	s_cbranch_vccnz .LBB8_105
; %bb.104:
	v_mad_u64_u32 v[4:5], null, s14, v8, 0
	v_mad_u64_u32 v[5:6], null, s15, v8, v[5:6]
	v_lshlrev_b64 v[4:5], 3, v[4:5]
	v_add_co_u32 v4, vcc_lo, v11, v4
	v_add_co_ci_u32_e64 v5, null, v12, v5, vcc_lo
	v_add_co_u32 v4, vcc_lo, 0x600, v4
	v_add_co_ci_u32_e64 v5, null, 0, v5, vcc_lo
.LBB8_105:
	global_load_dwordx2 v[4:5], v[4:5], off
	s_waitcnt vmcnt(0)
	v_cmp_neq_f32_e32 vcc_lo, 0, v4
	v_cmp_neq_f32_e64 s0, 0, v5
	s_or_b32 vcc_lo, vcc_lo, s0
	v_add_co_ci_u32_e64 v3, null, 0, v3, vcc_lo
.LBB8_106:
	s_or_b32 exec_lo, exec_lo, s4
	v_or_b32_e32 v16, 1, v8
	v_cndmask_b32_e64 v13, 0, 1, s1
	s_mov_b32 s2, exec_lo
	v_cmpx_gt_i32_e64 s10, v16
	s_cbranch_execz .LBB8_112
; %bb.107:
	s_andn2_b32 vcc_lo, exec_lo, s1
	s_cbranch_vccnz .LBB8_109
; %bb.108:
	global_load_dwordx2 v[4:5], v[9:10], off offset:8
	s_waitcnt vmcnt(0)
	v_cmp_neq_f32_e32 vcc_lo, 0, v4
	v_cmp_neq_f32_e64 s0, 0, v5
	v_mov_b32_e32 v7, v3
	v_mov_b32_e32 v6, v2
	;; [unrolled: 1-line block ×4, first 2 shown]
	s_or_b32 vcc_lo, vcc_lo, s0
	v_add_co_ci_u32_e64 v17, null, 0, v3, vcc_lo
	v_mov_b32_e32 v7, v17
	s_cbranch_execz .LBB8_110
	s_branch .LBB8_111
.LBB8_109:
                                        ; implicit-def: $vgpr4_vgpr5_vgpr6_vgpr7
.LBB8_110:
	v_mad_u64_u32 v[4:5], null, s14, v16, 0
	v_mad_u64_u32 v[5:6], null, s15, v16, v[5:6]
	v_lshlrev_b64 v[4:5], 3, v[4:5]
	v_add_co_u32 v4, vcc_lo, v11, v4
	v_add_co_ci_u32_e64 v5, null, v12, v5, vcc_lo
	global_load_dwordx2 v[4:5], v[4:5], off offset:1536
	s_waitcnt vmcnt(0)
	v_cmp_neq_f32_e32 vcc_lo, 0, v4
	v_cmp_neq_f32_e64 s0, 0, v5
	s_or_b32 vcc_lo, vcc_lo, s0
	v_add_co_ci_u32_e64 v3, null, 0, v3, vcc_lo
	v_mov_b32_e32 v7, v3
	v_mov_b32_e32 v6, v2
	;; [unrolled: 1-line block ×4, first 2 shown]
.LBB8_111:
	v_mov_b32_e32 v0, v4
	v_mov_b32_e32 v1, v5
	;; [unrolled: 1-line block ×4, first 2 shown]
.LBB8_112:
	s_or_b32 exec_lo, exec_lo, s2
	v_or_b32_e32 v16, 2, v8
	s_mov_b32 s1, exec_lo
	v_cmpx_gt_i32_e64 s10, v16
	s_cbranch_execz .LBB8_118
; %bb.113:
	v_cmp_ne_u32_e32 vcc_lo, 1, v13
	s_cbranch_vccnz .LBB8_115
; %bb.114:
	global_load_dwordx2 v[4:5], v[9:10], off offset:16
	s_waitcnt vmcnt(0)
	v_cmp_neq_f32_e32 vcc_lo, 0, v4
	v_cmp_neq_f32_e64 s0, 0, v5
	v_mov_b32_e32 v7, v3
	v_mov_b32_e32 v6, v2
	;; [unrolled: 1-line block ×4, first 2 shown]
	s_or_b32 vcc_lo, vcc_lo, s0
	v_add_co_ci_u32_e64 v17, null, 0, v3, vcc_lo
	v_mov_b32_e32 v7, v17
	s_cbranch_execz .LBB8_116
	s_branch .LBB8_117
.LBB8_115:
                                        ; implicit-def: $vgpr4_vgpr5_vgpr6_vgpr7
.LBB8_116:
	v_mad_u64_u32 v[4:5], null, s14, v16, 0
	v_mad_u64_u32 v[5:6], null, s15, v16, v[5:6]
	v_lshlrev_b64 v[4:5], 3, v[4:5]
	v_add_co_u32 v4, vcc_lo, v11, v4
	v_add_co_ci_u32_e64 v5, null, v12, v5, vcc_lo
	global_load_dwordx2 v[4:5], v[4:5], off offset:1536
	s_waitcnt vmcnt(0)
	v_cmp_neq_f32_e32 vcc_lo, 0, v4
	v_cmp_neq_f32_e64 s0, 0, v5
	s_or_b32 vcc_lo, vcc_lo, s0
	v_add_co_ci_u32_e64 v3, null, 0, v3, vcc_lo
	v_mov_b32_e32 v7, v3
	v_mov_b32_e32 v6, v2
	;; [unrolled: 1-line block ×4, first 2 shown]
.LBB8_117:
	v_mov_b32_e32 v0, v4
	v_mov_b32_e32 v1, v5
	;; [unrolled: 1-line block ×4, first 2 shown]
.LBB8_118:
	s_or_b32 exec_lo, exec_lo, s1
	v_or_b32_e32 v8, 3, v8
	s_mov_b32 s1, exec_lo
	v_cmpx_gt_i32_e64 s10, v8
	s_cbranch_execz .LBB8_124
; %bb.119:
	v_cmp_ne_u32_e32 vcc_lo, 1, v13
	s_cbranch_vccnz .LBB8_121
; %bb.120:
	global_load_dwordx2 v[4:5], v[9:10], off offset:24
	s_waitcnt vmcnt(0)
	v_cmp_neq_f32_e32 vcc_lo, 0, v4
	v_cmp_neq_f32_e64 s0, 0, v5
	v_mov_b32_e32 v7, v3
	v_mov_b32_e32 v6, v2
	v_mov_b32_e32 v5, v1
	v_mov_b32_e32 v4, v0
	s_or_b32 vcc_lo, vcc_lo, s0
	v_add_co_ci_u32_e64 v9, null, 0, v3, vcc_lo
	v_mov_b32_e32 v7, v9
	s_cbranch_execz .LBB8_122
	s_branch .LBB8_123
.LBB8_121:
                                        ; implicit-def: $vgpr4_vgpr5_vgpr6_vgpr7
.LBB8_122:
	v_mad_u64_u32 v[4:5], null, s14, v8, 0
	v_mad_u64_u32 v[5:6], null, s15, v8, v[5:6]
	v_lshlrev_b64 v[4:5], 3, v[4:5]
	v_add_co_u32 v4, vcc_lo, v11, v4
	v_add_co_ci_u32_e64 v5, null, v12, v5, vcc_lo
	global_load_dwordx2 v[4:5], v[4:5], off offset:1536
	s_waitcnt vmcnt(0)
	v_cmp_neq_f32_e32 vcc_lo, 0, v4
	v_cmp_neq_f32_e64 s0, 0, v5
	s_or_b32 vcc_lo, vcc_lo, s0
	v_add_co_ci_u32_e64 v3, null, 0, v3, vcc_lo
	v_mov_b32_e32 v7, v3
	v_mov_b32_e32 v6, v2
	;; [unrolled: 1-line block ×4, first 2 shown]
.LBB8_123:
	v_mov_b32_e32 v0, v4
	v_mov_b32_e32 v1, v5
	v_mov_b32_e32 v2, v6
	v_mov_b32_e32 v3, v7
.LBB8_124:
	s_or_b32 exec_lo, exec_lo, s1
.LBB8_125:
	s_or_b32 exec_lo, exec_lo, s3
.LBB8_126:
	v_lshlrev_b32_e32 v4, 4, v14
	v_lshlrev_b32_e32 v5, 2, v15
	s_mov_b32 s0, exec_lo
	v_and_or_b32 v4, 0x7ffffc00, v4, v5
	ds_write2st64_b32 v4, v0, v1 offset1:1
	ds_write2st64_b32 v4, v2, v3 offset0:2 offset1:3
	s_waitcnt lgkmcnt(0)
	s_barrier
	buffer_gl0_inv
	v_cmpx_gt_u32_e32 0x100, v14
	s_cbranch_execz .LBB8_129
; %bb.127:
	v_lshlrev_b32_e32 v8, 2, v14
	ds_read2st64_b32 v[0:1], v8 offset1:4
	ds_read2st64_b32 v[2:3], v8 offset0:8 offset1:12
	ds_read2st64_b32 v[4:5], v8 offset0:16 offset1:20
	;; [unrolled: 1-line block ×3, first 2 shown]
	s_waitcnt lgkmcnt(3)
	v_add_nc_u32_e32 v9, v0, v1
	ds_read2st64_b32 v[0:1], v8 offset0:32 offset1:36
	s_waitcnt lgkmcnt(3)
	v_add3_u32 v9, v9, v2, v3
	ds_read2st64_b32 v[2:3], v8 offset0:40 offset1:44
	s_waitcnt lgkmcnt(3)
	v_add3_u32 v9, v9, v4, v5
	;; [unrolled: 3-line block ×4, first 2 shown]
	s_waitcnt lgkmcnt(2)
	v_add3_u32 v0, v0, v2, v3
	s_waitcnt lgkmcnt(1)
	v_add3_u32 v1, v0, v4, v5
	v_add_nc_u32_e32 v0, s5, v14
	s_waitcnt lgkmcnt(0)
	v_add3_u32 v2, v1, v6, v7
	v_cmp_gt_i32_e32 vcc_lo, s9, v0
	ds_write_b32 v8, v2
	s_and_b32 exec_lo, exec_lo, vcc_lo
	s_cbranch_execz .LBB8_129
; %bb.128:
	v_ashrrev_i32_e32 v1, 31, v0
	v_lshlrev_b64 v[0:1], 2, v[0:1]
	v_add_co_u32 v0, vcc_lo, s16, v0
	v_add_co_ci_u32_e64 v1, null, s17, v1, vcc_lo
	global_store_dword v[0:1], v2, off
.LBB8_129:
	s_endpgm
	.section	.rodata,"a",@progbits
	.p2align	6, 0x0
	.amdhsa_kernel _ZN9rocsparseL14nnz_kernel_rowILi64ELi16Eii21rocsparse_complex_numIfEEEv16rocsparse_order_T2_S4_PKT3_lPT1_
		.amdhsa_group_segment_fixed_size 16384
		.amdhsa_private_segment_fixed_size 0
		.amdhsa_kernarg_size 296
		.amdhsa_user_sgpr_count 6
		.amdhsa_user_sgpr_private_segment_buffer 1
		.amdhsa_user_sgpr_dispatch_ptr 0
		.amdhsa_user_sgpr_queue_ptr 0
		.amdhsa_user_sgpr_kernarg_segment_ptr 1
		.amdhsa_user_sgpr_dispatch_id 0
		.amdhsa_user_sgpr_flat_scratch_init 0
		.amdhsa_user_sgpr_private_segment_size 0
		.amdhsa_wavefront_size32 1
		.amdhsa_uses_dynamic_stack 0
		.amdhsa_system_sgpr_private_segment_wavefront_offset 0
		.amdhsa_system_sgpr_workgroup_id_x 1
		.amdhsa_system_sgpr_workgroup_id_y 0
		.amdhsa_system_sgpr_workgroup_id_z 0
		.amdhsa_system_sgpr_workgroup_info 0
		.amdhsa_system_vgpr_workitem_id 1
		.amdhsa_next_free_vgpr 36
		.amdhsa_next_free_sgpr 22
		.amdhsa_reserve_vcc 1
		.amdhsa_reserve_flat_scratch 0
		.amdhsa_float_round_mode_32 0
		.amdhsa_float_round_mode_16_64 0
		.amdhsa_float_denorm_mode_32 3
		.amdhsa_float_denorm_mode_16_64 3
		.amdhsa_dx10_clamp 1
		.amdhsa_ieee_mode 1
		.amdhsa_fp16_overflow 0
		.amdhsa_workgroup_processor_mode 1
		.amdhsa_memory_ordered 1
		.amdhsa_forward_progress 1
		.amdhsa_shared_vgpr_count 0
		.amdhsa_exception_fp_ieee_invalid_op 0
		.amdhsa_exception_fp_denorm_src 0
		.amdhsa_exception_fp_ieee_div_zero 0
		.amdhsa_exception_fp_ieee_overflow 0
		.amdhsa_exception_fp_ieee_underflow 0
		.amdhsa_exception_fp_ieee_inexact 0
		.amdhsa_exception_int_div_zero 0
	.end_amdhsa_kernel
	.section	.text._ZN9rocsparseL14nnz_kernel_rowILi64ELi16Eii21rocsparse_complex_numIfEEEv16rocsparse_order_T2_S4_PKT3_lPT1_,"axG",@progbits,_ZN9rocsparseL14nnz_kernel_rowILi64ELi16Eii21rocsparse_complex_numIfEEEv16rocsparse_order_T2_S4_PKT3_lPT1_,comdat
.Lfunc_end8:
	.size	_ZN9rocsparseL14nnz_kernel_rowILi64ELi16Eii21rocsparse_complex_numIfEEEv16rocsparse_order_T2_S4_PKT3_lPT1_, .Lfunc_end8-_ZN9rocsparseL14nnz_kernel_rowILi64ELi16Eii21rocsparse_complex_numIfEEEv16rocsparse_order_T2_S4_PKT3_lPT1_
                                        ; -- End function
	.set _ZN9rocsparseL14nnz_kernel_rowILi64ELi16Eii21rocsparse_complex_numIfEEEv16rocsparse_order_T2_S4_PKT3_lPT1_.num_vgpr, 36
	.set _ZN9rocsparseL14nnz_kernel_rowILi64ELi16Eii21rocsparse_complex_numIfEEEv16rocsparse_order_T2_S4_PKT3_lPT1_.num_agpr, 0
	.set _ZN9rocsparseL14nnz_kernel_rowILi64ELi16Eii21rocsparse_complex_numIfEEEv16rocsparse_order_T2_S4_PKT3_lPT1_.numbered_sgpr, 22
	.set _ZN9rocsparseL14nnz_kernel_rowILi64ELi16Eii21rocsparse_complex_numIfEEEv16rocsparse_order_T2_S4_PKT3_lPT1_.num_named_barrier, 0
	.set _ZN9rocsparseL14nnz_kernel_rowILi64ELi16Eii21rocsparse_complex_numIfEEEv16rocsparse_order_T2_S4_PKT3_lPT1_.private_seg_size, 0
	.set _ZN9rocsparseL14nnz_kernel_rowILi64ELi16Eii21rocsparse_complex_numIfEEEv16rocsparse_order_T2_S4_PKT3_lPT1_.uses_vcc, 1
	.set _ZN9rocsparseL14nnz_kernel_rowILi64ELi16Eii21rocsparse_complex_numIfEEEv16rocsparse_order_T2_S4_PKT3_lPT1_.uses_flat_scratch, 0
	.set _ZN9rocsparseL14nnz_kernel_rowILi64ELi16Eii21rocsparse_complex_numIfEEEv16rocsparse_order_T2_S4_PKT3_lPT1_.has_dyn_sized_stack, 0
	.set _ZN9rocsparseL14nnz_kernel_rowILi64ELi16Eii21rocsparse_complex_numIfEEEv16rocsparse_order_T2_S4_PKT3_lPT1_.has_recursion, 0
	.set _ZN9rocsparseL14nnz_kernel_rowILi64ELi16Eii21rocsparse_complex_numIfEEEv16rocsparse_order_T2_S4_PKT3_lPT1_.has_indirect_call, 0
	.section	.AMDGPU.csdata,"",@progbits
; Kernel info:
; codeLenInByte = 6396
; TotalNumSgprs: 24
; NumVgprs: 36
; ScratchSize: 0
; MemoryBound: 0
; FloatMode: 240
; IeeeMode: 1
; LDSByteSize: 16384 bytes/workgroup (compile time only)
; SGPRBlocks: 0
; VGPRBlocks: 4
; NumSGPRsForWavesPerEU: 24
; NumVGPRsForWavesPerEU: 36
; Occupancy: 16
; WaveLimiterHint : 0
; COMPUTE_PGM_RSRC2:SCRATCH_EN: 0
; COMPUTE_PGM_RSRC2:USER_SGPR: 6
; COMPUTE_PGM_RSRC2:TRAP_HANDLER: 0
; COMPUTE_PGM_RSRC2:TGID_X_EN: 1
; COMPUTE_PGM_RSRC2:TGID_Y_EN: 0
; COMPUTE_PGM_RSRC2:TGID_Z_EN: 0
; COMPUTE_PGM_RSRC2:TIDIG_COMP_CNT: 1
	.section	.text._ZN9rocsparseL14nnz_kernel_colILi256Eii21rocsparse_complex_numIfEEEv16rocsparse_order_T1_S4_PKT2_lPT0_,"axG",@progbits,_ZN9rocsparseL14nnz_kernel_colILi256Eii21rocsparse_complex_numIfEEEv16rocsparse_order_T1_S4_PKT2_lPT0_,comdat
	.globl	_ZN9rocsparseL14nnz_kernel_colILi256Eii21rocsparse_complex_numIfEEEv16rocsparse_order_T1_S4_PKT2_lPT0_ ; -- Begin function _ZN9rocsparseL14nnz_kernel_colILi256Eii21rocsparse_complex_numIfEEEv16rocsparse_order_T1_S4_PKT2_lPT0_
	.p2align	8
	.type	_ZN9rocsparseL14nnz_kernel_colILi256Eii21rocsparse_complex_numIfEEEv16rocsparse_order_T1_S4_PKT2_lPT0_,@function
_ZN9rocsparseL14nnz_kernel_colILi256Eii21rocsparse_complex_numIfEEEv16rocsparse_order_T1_S4_PKT2_lPT0_: ; @_ZN9rocsparseL14nnz_kernel_colILi256Eii21rocsparse_complex_numIfEEEv16rocsparse_order_T1_S4_PKT2_lPT0_
; %bb.0:
	s_clause 0x1
	s_load_dwordx2 s[2:3], s[4:5], 0x0
	s_load_dwordx4 s[8:11], s[4:5], 0x10
	s_waitcnt lgkmcnt(0)
	s_ashr_i32 s0, s3, 31
	s_lshr_b32 s0, s0, 24
	s_add_i32 s0, s3, s0
	s_and_b32 s12, s0, 0xffffff00
	s_cmp_eq_u32 s2, 1
	s_cbranch_scc1 .LBB9_6
; %bb.1:
	v_mov_b32_e32 v3, 0
	s_cmpk_lt_i32 s3, 0x100
	s_cbranch_scc1 .LBB9_7
; %bb.2:
	v_mad_u64_u32 v[1:2], null, s10, v0, 0
	s_ashr_i32 s7, s6, 31
	s_lshl_b64 s[0:1], s[6:7], 3
	s_add_u32 s0, s8, s0
	s_addc_u32 s1, s9, s1
	v_mad_u64_u32 v[2:3], null, s11, v0, v[2:3]
	v_mov_b32_e32 v3, 0
	s_lshl_b64 s[14:15], s[10:11], 11
	v_lshlrev_b64 v[1:2], 3, v[1:2]
	v_add_co_u32 v1, vcc_lo, s0, v1
	v_add_co_ci_u32_e64 v2, null, s1, v2, vcc_lo
	s_mov_b32 s1, 0
	v_add_co_u32 v1, vcc_lo, v1, 4
	v_add_co_ci_u32_e64 v2, null, 0, v2, vcc_lo
	s_branch .LBB9_4
	.p2align	6
.LBB9_3:                                ;   in Loop: Header=BB9_4 Depth=1
	s_or_b32 exec_lo, exec_lo, s2
	v_add_co_u32 v1, vcc_lo, v1, s14
	v_add_co_ci_u32_e64 v2, null, s15, v2, vcc_lo
	s_addk_i32 s1, 0x100
	s_cmp_ge_i32 s1, s12
	s_cbranch_scc1 .LBB9_7
.LBB9_4:                                ; =>This Inner Loop Header: Depth=1
	v_add_nc_u32_e32 v4, s1, v0
	s_mov_b32 s2, exec_lo
	v_cmpx_gt_i32_e64 s3, v4
	s_cbranch_execz .LBB9_3
; %bb.5:                                ;   in Loop: Header=BB9_4 Depth=1
	global_load_dwordx2 v[4:5], v[1:2], off offset:-4
	s_waitcnt vmcnt(0)
	v_cmp_neq_f32_e32 vcc_lo, 0, v4
	v_cmp_neq_f32_e64 s0, 0, v5
	s_or_b32 vcc_lo, vcc_lo, s0
	v_add_co_ci_u32_e64 v3, null, 0, v3, vcc_lo
	s_branch .LBB9_3
.LBB9_6:
	s_mov_b32 s2, 0
                                        ; implicit-def: $vgpr3
                                        ; implicit-def: $vgpr1_vgpr2
	s_cbranch_execnz .LBB9_10
	s_branch .LBB9_16
.LBB9_7:
	v_add_nc_u32_e32 v4, s12, v0
	s_mov_b32 s0, 0
	s_mov_b32 s2, 0
	s_mov_b32 s1, exec_lo
                                        ; implicit-def: $vgpr1_vgpr2
	v_cmpx_gt_i32_e64 s3, v4
	s_xor_b32 s1, exec_lo, s1
	s_cbranch_execz .LBB9_9
; %bb.8:
	v_ashrrev_i32_e32 v5, 31, v4
	v_mul_lo_u32 v6, s11, v4
	v_mad_u64_u32 v[1:2], null, s10, v4, 0
	s_ashr_i32 s7, s6, 31
	v_mul_lo_u32 v4, s10, v5
	s_lshl_b64 s[14:15], s[6:7], 3
	s_mov_b32 s2, exec_lo
	v_add3_u32 v2, v2, v4, v6
	v_lshlrev_b64 v[1:2], 3, v[1:2]
	v_add_co_u32 v1, vcc_lo, s8, v1
	v_add_co_ci_u32_e64 v2, null, s9, v2, vcc_lo
	v_add_co_u32 v1, vcc_lo, v1, s14
	v_add_co_ci_u32_e64 v2, null, s15, v2, vcc_lo
.LBB9_9:
	s_or_b32 exec_lo, exec_lo, s1
	s_and_b32 vcc_lo, exec_lo, s0
	s_cbranch_vccz .LBB9_16
.LBB9_10:
	v_cmp_gt_i32_e32 vcc_lo, s3, v0
	s_ashr_i32 s0, s6, 31
	s_mul_hi_u32 s1, s10, s6
	s_mul_i32 s0, s10, s0
	v_mov_b32_e32 v3, 0
	v_cndmask_b32_e32 v1, 0, v0, vcc_lo
	s_add_i32 s0, s1, s0
	s_mul_i32 s1, s11, s6
	s_mul_i32 s10, s10, s6
	s_add_i32 s11, s0, s1
	v_lshlrev_b32_e32 v4, 3, v1
	s_cmpk_lt_i32 s3, 0x100
	s_cbranch_scc1 .LBB9_13
; %bb.11:
	s_lshl_b64 s[0:1], s[10:11], 3
	v_mov_b32_e32 v3, 0
	s_add_u32 s0, s8, s0
	s_addc_u32 s1, s9, s1
	v_add_co_u32 v1, s0, s0, v4
	v_add_co_ci_u32_e64 v2, null, s1, 0, s0
	s_mov_b32 s7, 0
	v_add_co_u32 v1, vcc_lo, v1, 4
	v_add_co_ci_u32_e64 v2, null, 0, v2, vcc_lo
	.p2align	6
.LBB9_12:                               ; =>This Inner Loop Header: Depth=1
	global_load_dwordx2 v[5:6], v[1:2], off offset:-4
	v_add_co_u32 v1, vcc_lo, 0x800, v1
	v_add_co_ci_u32_e64 v2, null, 0, v2, vcc_lo
	s_addk_i32 s7, 0x100
	s_waitcnt vmcnt(0)
	v_cmp_neq_f32_e64 s0, 0, v5
	v_cmp_neq_f32_e64 s1, 0, v6
	s_or_b32 vcc_lo, s0, s1
	s_cmp_ge_i32 s7, s12
	v_add_co_ci_u32_e64 v3, null, 0, v3, vcc_lo
	s_cbranch_scc0 .LBB9_12
.LBB9_13:
	v_add_nc_u32_e32 v1, s12, v0
	v_cmp_gt_i32_e32 vcc_lo, s3, v1
                                        ; implicit-def: $vgpr1_vgpr2
	s_and_saveexec_b32 s0, vcc_lo
; %bb.14:
	s_lshl_b64 s[10:11], s[10:11], 3
	s_add_u32 s1, s8, s10
	s_addc_u32 s7, s9, s11
	v_add_co_u32 v1, s1, s1, v4
	s_ashr_i32 s13, s12, 31
	v_add_co_ci_u32_e64 v2, null, s7, 0, s1
	s_lshl_b64 s[8:9], s[12:13], 3
	s_or_b32 s2, s2, exec_lo
	v_add_co_u32 v1, vcc_lo, v1, s8
	v_add_co_ci_u32_e64 v2, null, s9, v2, vcc_lo
; %bb.15:
	s_or_b32 exec_lo, exec_lo, s0
.LBB9_16:
	s_and_saveexec_b32 s1, s2
	s_cbranch_execz .LBB9_18
; %bb.17:
	global_load_dwordx2 v[1:2], v[1:2], off
	s_waitcnt vmcnt(0)
	v_cmp_neq_f32_e32 vcc_lo, 0, v1
	v_cmp_neq_f32_e64 s0, 0, v2
	s_or_b32 vcc_lo, vcc_lo, s0
	v_add_co_ci_u32_e64 v3, null, 0, v3, vcc_lo
.LBB9_18:
	s_or_b32 exec_lo, exec_lo, s1
	v_lshlrev_b32_e32 v1, 2, v0
	s_cmpk_lt_i32 s3, 0x100
	s_mov_b32 s0, -1
	v_cmp_eq_u32_e32 vcc_lo, 0, v0
	ds_write_b32 v1, v3
	s_waitcnt lgkmcnt(0)
	s_cbranch_scc0 .LBB9_29
; %bb.19:
	s_cmp_gt_i32 s3, 1
	s_mov_b32 s2, 1
	s_cselect_b32 s0, -1, 0
	s_barrier
	s_and_b32 s1, vcc_lo, s0
	buffer_gl0_inv
	s_and_saveexec_b32 s0, s1
	s_cbranch_execz .LBB9_28
; %bb.20:
	v_mov_b32_e32 v2, 0
	s_add_i32 s7, s3, -2
	s_add_i32 s1, s3, -1
	s_cmp_lt_u32 s7, 7
	ds_read_b32 v2, v2
	s_cbranch_scc1 .LBB9_24
; %bb.21:
	s_and_b32 s2, s1, -8
	s_mov_b32 s7, 0
	s_mov_b32 s3, 4
	.p2align	6
.LBB9_22:                               ; =>This Inner Loop Header: Depth=1
	v_mov_b32_e32 v9, s3
	s_mov_b32 s8, s7
	s_add_i32 s7, s7, 8
	s_add_i32 s3, s3, 32
	s_cmp_lg_u32 s2, s7
	ds_read2_b32 v[3:4], v9 offset1:1
	ds_read2_b32 v[5:6], v9 offset0:2 offset1:3
	ds_read2_b32 v[7:8], v9 offset0:4 offset1:5
	;; [unrolled: 1-line block ×3, first 2 shown]
	s_waitcnt lgkmcnt(3)
	v_add_nc_u32_e32 v2, v2, v3
	v_add_nc_u32_e32 v2, v2, v4
	s_waitcnt lgkmcnt(2)
	v_add_nc_u32_e32 v2, v2, v5
	v_add_nc_u32_e32 v2, v2, v6
	;; [unrolled: 3-line block ×4, first 2 shown]
	s_cbranch_scc1 .LBB9_22
; %bb.23:
	s_add_i32 s2, s8, 9
.LBB9_24:
	s_and_b32 s1, s1, 7
	s_cmp_eq_u32 s1, 0
	s_cbranch_scc1 .LBB9_27
; %bb.25:
	s_lshl_b32 s2, s2, 2
.LBB9_26:                               ; =>This Inner Loop Header: Depth=1
	v_mov_b32_e32 v3, s2
	s_add_i32 s1, s1, -1
	s_add_i32 s2, s2, 4
	s_cmp_lg_u32 s1, 0
	ds_read_b32 v3, v3
	s_waitcnt lgkmcnt(0)
	v_add_nc_u32_e32 v2, v2, v3
	s_cbranch_scc1 .LBB9_26
.LBB9_27:
	v_mov_b32_e32 v3, 0
	s_waitcnt lgkmcnt(0)
	ds_write_b32 v3, v2
.LBB9_28:
	s_or_b32 exec_lo, exec_lo, s0
	s_mov_b32 s0, 0
	s_waitcnt lgkmcnt(0)
	s_barrier
.LBB9_29:
	s_and_b32 vcc_lo, exec_lo, s0
	s_cbranch_vccz .LBB9_47
; %bb.30:
	s_mov_b32 s0, exec_lo
	s_barrier
	buffer_gl0_inv
	v_cmpx_gt_u32_e32 0x80, v0
	s_cbranch_execz .LBB9_32
; %bb.31:
	ds_read2st64_b32 v[2:3], v1 offset1:2
	s_waitcnt lgkmcnt(0)
	v_add_nc_u32_e32 v2, v2, v3
	ds_write_b32 v1, v2
.LBB9_32:
	s_or_b32 exec_lo, exec_lo, s0
	s_mov_b32 s0, exec_lo
	s_waitcnt lgkmcnt(0)
	s_barrier
	buffer_gl0_inv
	v_cmpx_gt_u32_e32 64, v0
	s_cbranch_execz .LBB9_34
; %bb.33:
	ds_read2st64_b32 v[2:3], v1 offset1:1
	s_waitcnt lgkmcnt(0)
	v_add_nc_u32_e32 v2, v2, v3
	ds_write_b32 v1, v2
.LBB9_34:
	s_or_b32 exec_lo, exec_lo, s0
	s_mov_b32 s0, exec_lo
	s_waitcnt lgkmcnt(0)
	s_barrier
	buffer_gl0_inv
	v_cmpx_gt_u32_e32 32, v0
	s_cbranch_execz .LBB9_36
; %bb.35:
	ds_read2_b32 v[2:3], v1 offset1:32
	s_waitcnt lgkmcnt(0)
	v_add_nc_u32_e32 v2, v2, v3
	ds_write_b32 v1, v2
.LBB9_36:
	s_or_b32 exec_lo, exec_lo, s0
	s_mov_b32 s0, exec_lo
	s_waitcnt lgkmcnt(0)
	s_barrier
	buffer_gl0_inv
	v_cmpx_gt_u32_e32 16, v0
	s_cbranch_execz .LBB9_38
; %bb.37:
	ds_read2_b32 v[2:3], v1 offset1:16
	s_waitcnt lgkmcnt(0)
	v_add_nc_u32_e32 v2, v2, v3
	ds_write_b32 v1, v2
.LBB9_38:
	;; [unrolled: 13-line block ×5, first 2 shown]
	s_or_b32 exec_lo, exec_lo, s0
	s_mov_b32 s0, exec_lo
	s_waitcnt lgkmcnt(0)
	s_barrier
	buffer_gl0_inv
	v_cmpx_eq_u32_e32 0, v0
	s_cbranch_execz .LBB9_46
; %bb.45:
	v_mov_b32_e32 v3, 0
	ds_read_b64 v[1:2], v3
	s_waitcnt lgkmcnt(0)
	v_add_nc_u32_e32 v1, v1, v2
	ds_write_b32 v3, v1
.LBB9_46:
	s_or_b32 exec_lo, exec_lo, s0
	s_waitcnt lgkmcnt(0)
	s_barrier
.LBB9_47:
	buffer_gl0_inv
	s_mov_b32 s0, exec_lo
	v_cmpx_eq_u32_e32 0, v0
	s_cbranch_execz .LBB9_49
; %bb.48:
	v_mov_b32_e32 v0, 0
	s_load_dwordx2 s[0:1], s[4:5], 0x20
	s_ashr_i32 s7, s6, 31
	s_lshl_b64 s[2:3], s[6:7], 2
	ds_read_b32 v1, v0
	s_waitcnt lgkmcnt(0)
	s_add_u32 s0, s0, s2
	s_addc_u32 s1, s1, s3
	global_store_dword v0, v1, s[0:1]
.LBB9_49:
	s_endpgm
	.section	.rodata,"a",@progbits
	.p2align	6, 0x0
	.amdhsa_kernel _ZN9rocsparseL14nnz_kernel_colILi256Eii21rocsparse_complex_numIfEEEv16rocsparse_order_T1_S4_PKT2_lPT0_
		.amdhsa_group_segment_fixed_size 1024
		.amdhsa_private_segment_fixed_size 0
		.amdhsa_kernarg_size 40
		.amdhsa_user_sgpr_count 6
		.amdhsa_user_sgpr_private_segment_buffer 1
		.amdhsa_user_sgpr_dispatch_ptr 0
		.amdhsa_user_sgpr_queue_ptr 0
		.amdhsa_user_sgpr_kernarg_segment_ptr 1
		.amdhsa_user_sgpr_dispatch_id 0
		.amdhsa_user_sgpr_flat_scratch_init 0
		.amdhsa_user_sgpr_private_segment_size 0
		.amdhsa_wavefront_size32 1
		.amdhsa_uses_dynamic_stack 0
		.amdhsa_system_sgpr_private_segment_wavefront_offset 0
		.amdhsa_system_sgpr_workgroup_id_x 1
		.amdhsa_system_sgpr_workgroup_id_y 0
		.amdhsa_system_sgpr_workgroup_id_z 0
		.amdhsa_system_sgpr_workgroup_info 0
		.amdhsa_system_vgpr_workitem_id 0
		.amdhsa_next_free_vgpr 11
		.amdhsa_next_free_sgpr 16
		.amdhsa_reserve_vcc 1
		.amdhsa_reserve_flat_scratch 0
		.amdhsa_float_round_mode_32 0
		.amdhsa_float_round_mode_16_64 0
		.amdhsa_float_denorm_mode_32 3
		.amdhsa_float_denorm_mode_16_64 3
		.amdhsa_dx10_clamp 1
		.amdhsa_ieee_mode 1
		.amdhsa_fp16_overflow 0
		.amdhsa_workgroup_processor_mode 1
		.amdhsa_memory_ordered 1
		.amdhsa_forward_progress 1
		.amdhsa_shared_vgpr_count 0
		.amdhsa_exception_fp_ieee_invalid_op 0
		.amdhsa_exception_fp_denorm_src 0
		.amdhsa_exception_fp_ieee_div_zero 0
		.amdhsa_exception_fp_ieee_overflow 0
		.amdhsa_exception_fp_ieee_underflow 0
		.amdhsa_exception_fp_ieee_inexact 0
		.amdhsa_exception_int_div_zero 0
	.end_amdhsa_kernel
	.section	.text._ZN9rocsparseL14nnz_kernel_colILi256Eii21rocsparse_complex_numIfEEEv16rocsparse_order_T1_S4_PKT2_lPT0_,"axG",@progbits,_ZN9rocsparseL14nnz_kernel_colILi256Eii21rocsparse_complex_numIfEEEv16rocsparse_order_T1_S4_PKT2_lPT0_,comdat
.Lfunc_end9:
	.size	_ZN9rocsparseL14nnz_kernel_colILi256Eii21rocsparse_complex_numIfEEEv16rocsparse_order_T1_S4_PKT2_lPT0_, .Lfunc_end9-_ZN9rocsparseL14nnz_kernel_colILi256Eii21rocsparse_complex_numIfEEEv16rocsparse_order_T1_S4_PKT2_lPT0_
                                        ; -- End function
	.set _ZN9rocsparseL14nnz_kernel_colILi256Eii21rocsparse_complex_numIfEEEv16rocsparse_order_T1_S4_PKT2_lPT0_.num_vgpr, 11
	.set _ZN9rocsparseL14nnz_kernel_colILi256Eii21rocsparse_complex_numIfEEEv16rocsparse_order_T1_S4_PKT2_lPT0_.num_agpr, 0
	.set _ZN9rocsparseL14nnz_kernel_colILi256Eii21rocsparse_complex_numIfEEEv16rocsparse_order_T1_S4_PKT2_lPT0_.numbered_sgpr, 16
	.set _ZN9rocsparseL14nnz_kernel_colILi256Eii21rocsparse_complex_numIfEEEv16rocsparse_order_T1_S4_PKT2_lPT0_.num_named_barrier, 0
	.set _ZN9rocsparseL14nnz_kernel_colILi256Eii21rocsparse_complex_numIfEEEv16rocsparse_order_T1_S4_PKT2_lPT0_.private_seg_size, 0
	.set _ZN9rocsparseL14nnz_kernel_colILi256Eii21rocsparse_complex_numIfEEEv16rocsparse_order_T1_S4_PKT2_lPT0_.uses_vcc, 1
	.set _ZN9rocsparseL14nnz_kernel_colILi256Eii21rocsparse_complex_numIfEEEv16rocsparse_order_T1_S4_PKT2_lPT0_.uses_flat_scratch, 0
	.set _ZN9rocsparseL14nnz_kernel_colILi256Eii21rocsparse_complex_numIfEEEv16rocsparse_order_T1_S4_PKT2_lPT0_.has_dyn_sized_stack, 0
	.set _ZN9rocsparseL14nnz_kernel_colILi256Eii21rocsparse_complex_numIfEEEv16rocsparse_order_T1_S4_PKT2_lPT0_.has_recursion, 0
	.set _ZN9rocsparseL14nnz_kernel_colILi256Eii21rocsparse_complex_numIfEEEv16rocsparse_order_T1_S4_PKT2_lPT0_.has_indirect_call, 0
	.section	.AMDGPU.csdata,"",@progbits
; Kernel info:
; codeLenInByte = 1628
; TotalNumSgprs: 18
; NumVgprs: 11
; ScratchSize: 0
; MemoryBound: 0
; FloatMode: 240
; IeeeMode: 1
; LDSByteSize: 1024 bytes/workgroup (compile time only)
; SGPRBlocks: 0
; VGPRBlocks: 1
; NumSGPRsForWavesPerEU: 18
; NumVGPRsForWavesPerEU: 11
; Occupancy: 16
; WaveLimiterHint : 0
; COMPUTE_PGM_RSRC2:SCRATCH_EN: 0
; COMPUTE_PGM_RSRC2:USER_SGPR: 6
; COMPUTE_PGM_RSRC2:TRAP_HANDLER: 0
; COMPUTE_PGM_RSRC2:TGID_X_EN: 1
; COMPUTE_PGM_RSRC2:TGID_Y_EN: 0
; COMPUTE_PGM_RSRC2:TGID_Z_EN: 0
; COMPUTE_PGM_RSRC2:TIDIG_COMP_CNT: 0
	.section	.text._ZN9rocsparseL14nnz_kernel_rowILi64ELi16Eii21rocsparse_complex_numIdEEEv16rocsparse_order_T2_S4_PKT3_lPT1_,"axG",@progbits,_ZN9rocsparseL14nnz_kernel_rowILi64ELi16Eii21rocsparse_complex_numIdEEEv16rocsparse_order_T2_S4_PKT3_lPT1_,comdat
	.globl	_ZN9rocsparseL14nnz_kernel_rowILi64ELi16Eii21rocsparse_complex_numIdEEEv16rocsparse_order_T2_S4_PKT3_lPT1_ ; -- Begin function _ZN9rocsparseL14nnz_kernel_rowILi64ELi16Eii21rocsparse_complex_numIdEEEv16rocsparse_order_T2_S4_PKT3_lPT1_
	.p2align	8
	.type	_ZN9rocsparseL14nnz_kernel_rowILi64ELi16Eii21rocsparse_complex_numIdEEEv16rocsparse_order_T2_S4_PKT3_lPT1_,@function
_ZN9rocsparseL14nnz_kernel_rowILi64ELi16Eii21rocsparse_complex_numIdEEEv16rocsparse_order_T2_S4_PKT3_lPT1_: ; @_ZN9rocsparseL14nnz_kernel_rowILi64ELi16Eii21rocsparse_complex_numIdEEEv16rocsparse_order_T2_S4_PKT3_lPT1_
; %bb.0:
	s_clause 0x2
	s_load_dword s0, s[4:5], 0x34
	s_load_dwordx8 s[12:19], s[4:5], 0x0
	s_load_dwordx2 s[10:11], s[4:5], 0x20
	s_lshl_b32 s9, s6, 8
	s_mov_b32 s23, 0
	s_mov_b32 s22, exec_lo
	s_waitcnt lgkmcnt(0)
	s_and_b32 s0, s0, 0xffff
	v_mad_u32_u24 v16, v1, s0, v0
	v_mov_b32_e32 v0, 0
	s_ashr_i32 s0, s14, 31
	s_lshr_b32 s0, s0, 26
	v_and_b32_e32 v17, 63, v16
	v_lshrrev_b32_e32 v2, 4, v16
	v_mov_b32_e32 v1, v0
	v_mov_b32_e32 v3, v0
	s_add_i32 s15, s14, s0
	v_or_b32_e32 v12, s9, v17
	v_and_b32_e32 v8, 0x7ffffc, v2
	v_mov_b32_e32 v2, v0
	s_andn2_b32 s15, s15, 63
	v_or_b32_e32 v18, 64, v12
	v_or_b32_e32 v11, 0x80, v12
	;; [unrolled: 1-line block ×3, first 2 shown]
	v_cmpx_gt_i32_e64 s15, v8
	s_cbranch_execz .LBB10_28
; %bb.1:
	v_lshrrev_b32_e32 v32, 6, v16
	v_add_nc_u32_e32 v1, s9, v17
	v_and_b32_e32 v45, 0x7ffffc0, v16
	v_cmp_gt_i32_e64 s0, s13, v12
	v_cmp_gt_i32_e64 s1, s13, v18
	v_lshlrev_b32_e32 v31, 2, v32
	v_ashrrev_i32_e32 v2, 31, v1
	v_add_nc_u32_e32 v5, 0xc0, v1
	v_mul_lo_u32 v9, s19, v1
	v_mad_u64_u32 v[13:14], null, s18, v1, 0
	v_or_b32_e32 v7, 3, v31
	v_mul_lo_u32 v21, s18, v2
	v_or_b32_e32 v26, 2, v31
	v_add_nc_u32_e32 v15, 64, v1
	v_add_nc_u32_e32 v27, 0x80, v1
	v_mad_u64_u32 v[3:4], null, s18, v7, 0
	v_mad_u64_u32 v[23:24], null, s18, v26, 0
	v_ashrrev_i32_e32 v25, 31, v15
	v_add3_u32 v14, v14, v21, v9
	v_ashrrev_i32_e32 v6, 31, v5
	v_ashrrev_i32_e32 v28, 31, v27
	v_mad_u64_u32 v[19:20], null, s19, v7, v[4:5]
	v_mul_lo_u32 v20, s19, v15
	v_mad_u64_u32 v[21:22], null, s18, v15, 0
	v_lshlrev_b64 v[13:14], 4, v[13:14]
	v_mov_b32_e32 v7, v24
	v_lshlrev_b64 v[39:40], 4, v[5:6]
	v_mov_b32_e32 v4, v19
	v_mul_lo_u32 v19, s18, v25
	v_mad_u64_u32 v[29:30], null, s18, v31, s[18:19]
	v_lshlrev_b64 v[41:42], 4, v[27:28]
	v_lshlrev_b64 v[3:4], 4, v[3:4]
	v_add_co_u32 v9, vcc_lo, v13, v45
	v_lshlrev_b64 v[1:2], 4, v[1:2]
	v_mad_u64_u32 v[24:25], null, s19, v26, v[7:8]
	v_add3_u32 v22, v22, v19, v20
	v_add_co_ci_u32_e64 v13, null, 0, v14, vcc_lo
	v_add_co_u32 v14, vcc_lo, v3, v39
	v_add_co_ci_u32_e64 v15, null, v4, v40, vcc_lo
	v_add_co_u32 v19, vcc_lo, v3, v41
	v_mov_b32_e32 v7, v30
	v_add_co_ci_u32_e64 v20, null, v4, v42, vcc_lo
	v_lshlrev_b64 v[25:26], 4, v[21:22]
	v_add_co_u32 v21, vcc_lo, v3, v1
	v_mad_u64_u32 v[37:38], null, s18, v32, 0
	v_add_co_ci_u32_e64 v22, null, v4, v2, vcc_lo
	v_lshlrev_b64 v[3:4], 4, v[23:24]
	v_mad_u64_u32 v[30:31], null, s19, v31, v[7:8]
	v_add_co_u32 v23, vcc_lo, v25, v45
	v_add_co_ci_u32_e64 v24, null, 0, v26, vcc_lo
	v_add_co_u32 v25, vcc_lo, v3, v39
	v_mov_b32_e32 v7, v38
	v_add_co_ci_u32_e64 v26, null, v4, v40, vcc_lo
	v_mul_lo_u32 v31, s18, v28
	v_mul_lo_u32 v35, s19, v27
	v_mad_u64_u32 v[33:34], null, s18, v27, 0
	v_add_co_u32 v27, vcc_lo, v3, v41
	v_add_co_ci_u32_e64 v28, null, v4, v42, vcc_lo
	v_lshlrev_b64 v[43:44], 4, v[29:30]
	v_add_co_u32 v29, vcc_lo, v3, v1
	v_add_co_ci_u32_e64 v30, null, v4, v2, vcc_lo
	v_mad_u64_u32 v[3:4], null, s19, v32, v[7:8]
	v_add3_u32 v34, v34, v31, v35
	v_mul_lo_u32 v7, s18, v6
	v_mul_lo_u32 v46, s19, v5
	v_mad_u64_u32 v[5:6], null, s18, v5, 0
	v_lshlrev_b64 v[35:36], 4, v[33:34]
	v_mov_b32_e32 v38, v3
	v_add_co_u32 v31, vcc_lo, v43, v39
	v_add_co_ci_u32_e64 v32, null, v44, v40, vcc_lo
	v_add_co_u32 v33, vcc_lo, v43, v41
	v_lshlrev_b64 v[3:4], 6, v[37:38]
	v_add3_u32 v6, v6, v7, v46
	v_add_co_ci_u32_e64 v34, null, v44, v42, vcc_lo
	v_add_co_u32 v35, vcc_lo, v35, v45
	v_add_co_ci_u32_e64 v36, null, 0, v36, vcc_lo
	v_add_co_u32 v37, vcc_lo, v43, v1
	;; [unrolled: 2-line block ×3, first 2 shown]
	v_lshlrev_b64 v[5:6], 4, v[5:6]
	v_add_co_ci_u32_e64 v40, null, v4, v40, vcc_lo
	v_add_co_u32 v41, vcc_lo, v3, v41
	v_add_co_ci_u32_e64 v42, null, v4, v42, vcc_lo
	v_add_co_u32 v43, vcc_lo, v3, v1
	;; [unrolled: 2-line block ×3, first 2 shown]
	v_cmp_gt_i32_e64 s2, s13, v11
	v_cmp_gt_i32_e64 s3, s13, v10
	v_add_co_ci_u32_e64 v46, null, 0, v6, vcc_lo
	v_mov_b32_e32 v1, v0
	v_mov_b32_e32 v2, v0
	v_mov_b32_e32 v3, v0
	s_cmp_lg_u32 s12, 1
	s_cselect_b32 s24, -1, 0
	s_lshl_b64 s[20:21], s[18:19], 10
	s_branch .LBB10_4
.LBB10_2:                               ;   in Loop: Header=BB10_4 Depth=1
	v_mov_b32_e32 v0, v4
	v_mov_b32_e32 v1, v5
	;; [unrolled: 1-line block ×4, first 2 shown]
.LBB10_3:                               ;   in Loop: Header=BB10_4 Depth=1
	s_or_b32 exec_lo, exec_lo, s25
	v_add_co_u32 v9, vcc_lo, 0x400, v9
	v_add_co_ci_u32_e64 v13, null, 0, v13, vcc_lo
	v_add_co_u32 v14, vcc_lo, v14, s20
	v_add_co_ci_u32_e64 v15, null, s21, v15, vcc_lo
	v_add_co_u32 v19, vcc_lo, v19, s20
	v_add_co_ci_u32_e64 v20, null, s21, v20, vcc_lo
	v_add_co_u32 v21, vcc_lo, v21, s20
	v_add_co_ci_u32_e64 v22, null, s21, v22, vcc_lo
	v_add_co_u32 v23, vcc_lo, 0x400, v23
	v_add_co_ci_u32_e64 v24, null, 0, v24, vcc_lo
	v_add_co_u32 v25, vcc_lo, v25, s20
	v_add_co_ci_u32_e64 v26, null, s21, v26, vcc_lo
	v_add_co_u32 v27, vcc_lo, v27, s20
	v_add_co_ci_u32_e64 v28, null, s21, v28, vcc_lo
	v_add_co_u32 v29, vcc_lo, v29, s20
	v_add_co_ci_u32_e64 v30, null, s21, v30, vcc_lo
	v_add_co_u32 v31, vcc_lo, v31, s20
	v_add_co_ci_u32_e64 v32, null, s21, v32, vcc_lo
	v_add_co_u32 v33, vcc_lo, v33, s20
	v_add_co_ci_u32_e64 v34, null, s21, v34, vcc_lo
	v_add_co_u32 v35, vcc_lo, 0x400, v35
	v_add_co_ci_u32_e64 v36, null, 0, v36, vcc_lo
	v_add_co_u32 v37, vcc_lo, v37, s20
	v_add_co_ci_u32_e64 v38, null, s21, v38, vcc_lo
	v_add_co_u32 v39, vcc_lo, v39, s20
	v_add_nc_u32_e32 v8, 64, v8
	v_add_co_ci_u32_e64 v40, null, s21, v40, vcc_lo
	v_add_co_u32 v41, vcc_lo, v41, s20
	v_add_co_ci_u32_e64 v42, null, s21, v42, vcc_lo
	v_add_co_u32 v43, vcc_lo, v43, s20
	v_add_co_ci_u32_e64 v44, null, s21, v44, vcc_lo
	v_cmp_le_i32_e32 vcc_lo, s15, v8
	v_add_co_u32 v45, s4, 0x400, v45
	v_add_co_ci_u32_e64 v46, null, 0, v46, s4
	s_or_b32 s23, vcc_lo, s23
	s_andn2_b32 exec_lo, exec_lo, s23
	s_cbranch_execz .LBB10_27
.LBB10_4:                               ; =>This Inner Loop Header: Depth=1
	s_and_saveexec_b32 s25, s0
	s_cbranch_execnz .LBB10_8
; %bb.5:                                ;   in Loop: Header=BB10_4 Depth=1
	s_or_b32 exec_lo, exec_lo, s25
	s_and_saveexec_b32 s25, s1
	s_cbranch_execnz .LBB10_13
.LBB10_6:                               ;   in Loop: Header=BB10_4 Depth=1
	s_or_b32 exec_lo, exec_lo, s25
	s_and_saveexec_b32 s25, s2
	s_cbranch_execnz .LBB10_18
.LBB10_7:                               ;   in Loop: Header=BB10_4 Depth=1
	s_or_b32 exec_lo, exec_lo, s25
	s_and_saveexec_b32 s25, s3
	s_cbranch_execz .LBB10_3
	s_branch .LBB10_23
.LBB10_8:                               ;   in Loop: Header=BB10_4 Depth=1
	v_add_nc_u32_e32 v47, 1, v0
	s_andn2_b32 vcc_lo, exec_lo, s24
	s_mov_b32 s4, -1
                                        ; implicit-def: $vgpr4_vgpr5_vgpr6_vgpr7
	s_cbranch_vccnz .LBB10_10
; %bb.9:                                ;   in Loop: Header=BB10_4 Depth=1
	v_add_co_u32 v56, vcc_lo, s16, v9
	v_add_co_ci_u32_e64 v57, null, s17, v13, vcc_lo
	s_clause 0x3
	global_load_dwordx4 v[4:7], v[56:57], off
	global_load_dwordx4 v[48:51], v[56:57], off offset:16
	global_load_dwordx4 v[52:55], v[56:57], off offset:32
	;; [unrolled: 1-line block ×3, first 2 shown]
	s_waitcnt vmcnt(3)
	v_cmp_neq_f64_e32 vcc_lo, 0, v[4:5]
	v_cmp_neq_f64_e64 s4, 0, v[6:7]
	s_waitcnt vmcnt(2)
	v_cmp_neq_f64_e64 s5, 0, v[48:49]
	v_cmp_neq_f64_e64 s6, 0, v[50:51]
	s_waitcnt vmcnt(1)
	v_cmp_neq_f64_e64 s7, 0, v[52:53]
	v_cmp_neq_f64_e64 s8, 0, v[54:55]
	v_mov_b32_e32 v6, v2
	s_or_b32 vcc_lo, vcc_lo, s4
	s_waitcnt vmcnt(0)
	v_cmp_neq_f64_e64 s4, 0, v[58:59]
	v_cndmask_b32_e32 v4, v0, v47, vcc_lo
	v_cmp_neq_f64_e32 vcc_lo, 0, v[56:57]
	s_or_b32 s5, s5, s6
	v_add_nc_u32_e32 v5, 1, v4
	v_cndmask_b32_e64 v4, v4, v5, s5
	s_or_b32 s5, s7, s8
	v_add_nc_u32_e32 v5, 1, v4
	v_cndmask_b32_e64 v4, v4, v5, s5
	v_mov_b32_e32 v5, v1
	s_or_b32 vcc_lo, vcc_lo, s4
	s_mov_b32 s4, 0
	v_add_nc_u32_e32 v7, 1, v4
	v_cndmask_b32_e32 v4, v4, v7, vcc_lo
	v_mov_b32_e32 v7, v3
.LBB10_10:                              ;   in Loop: Header=BB10_4 Depth=1
	s_andn2_b32 vcc_lo, exec_lo, s4
	s_cbranch_vccnz .LBB10_12
; %bb.11:                               ;   in Loop: Header=BB10_4 Depth=1
	v_add_co_u32 v4, vcc_lo, s16, v43
	v_add_co_ci_u32_e64 v5, null, s17, v44, vcc_lo
	v_add_co_u32 v48, vcc_lo, s16, v37
	v_add_co_ci_u32_e64 v49, null, s17, v38, vcc_lo
	global_load_dwordx4 v[4:7], v[4:5], off
	v_add_co_u32 v52, vcc_lo, s16, v29
	global_load_dwordx4 v[48:51], v[48:49], off
	v_add_co_ci_u32_e64 v53, null, s17, v30, vcc_lo
	v_add_co_u32 v56, vcc_lo, s16, v21
	v_add_co_ci_u32_e64 v57, null, s17, v22, vcc_lo
	s_clause 0x1
	global_load_dwordx4 v[52:55], v[52:53], off
	global_load_dwordx4 v[56:59], v[56:57], off
	s_waitcnt vmcnt(3)
	v_cmp_neq_f64_e32 vcc_lo, 0, v[4:5]
	v_cmp_neq_f64_e64 s4, 0, v[6:7]
	s_waitcnt vmcnt(2)
	v_cmp_neq_f64_e64 s5, 0, v[48:49]
	v_cmp_neq_f64_e64 s6, 0, v[50:51]
	s_waitcnt vmcnt(1)
	v_cmp_neq_f64_e64 s7, 0, v[52:53]
	v_cmp_neq_f64_e64 s8, 0, v[54:55]
	s_or_b32 vcc_lo, vcc_lo, s4
	s_waitcnt vmcnt(0)
	v_cmp_neq_f64_e64 s4, 0, v[58:59]
	v_cndmask_b32_e32 v0, v0, v47, vcc_lo
	v_cmp_neq_f64_e32 vcc_lo, 0, v[56:57]
	s_or_b32 s5, s5, s6
	v_add_nc_u32_e32 v4, 1, v0
	v_cndmask_b32_e64 v0, v0, v4, s5
	s_or_b32 s5, s7, s8
	v_add_nc_u32_e32 v4, 1, v0
	v_cndmask_b32_e64 v0, v0, v4, s5
	s_or_b32 vcc_lo, vcc_lo, s4
	v_add_nc_u32_e32 v4, 1, v0
	v_cndmask_b32_e32 v0, v0, v4, vcc_lo
	v_mov_b32_e32 v7, v3
	v_mov_b32_e32 v6, v2
	;; [unrolled: 1-line block ×4, first 2 shown]
.LBB10_12:                              ;   in Loop: Header=BB10_4 Depth=1
	v_mov_b32_e32 v0, v4
	v_mov_b32_e32 v1, v5
	;; [unrolled: 1-line block ×4, first 2 shown]
	s_or_b32 exec_lo, exec_lo, s25
	s_and_saveexec_b32 s25, s1
	s_cbranch_execz .LBB10_6
.LBB10_13:                              ;   in Loop: Header=BB10_4 Depth=1
	v_add_nc_u32_e32 v47, 1, v1
	s_andn2_b32 vcc_lo, exec_lo, s24
	s_mov_b32 s4, -1
                                        ; implicit-def: $vgpr4_vgpr5_vgpr6_vgpr7
	s_cbranch_vccnz .LBB10_15
; %bb.14:                               ;   in Loop: Header=BB10_4 Depth=1
	v_add_co_u32 v56, vcc_lo, s16, v23
	v_add_co_ci_u32_e64 v57, null, s17, v24, vcc_lo
	s_clause 0x3
	global_load_dwordx4 v[4:7], v[56:57], off
	global_load_dwordx4 v[48:51], v[56:57], off offset:16
	global_load_dwordx4 v[52:55], v[56:57], off offset:32
	;; [unrolled: 1-line block ×3, first 2 shown]
	s_waitcnt vmcnt(3)
	v_cmp_neq_f64_e32 vcc_lo, 0, v[4:5]
	v_cmp_neq_f64_e64 s4, 0, v[6:7]
	s_waitcnt vmcnt(2)
	v_cmp_neq_f64_e64 s5, 0, v[48:49]
	v_cmp_neq_f64_e64 s6, 0, v[50:51]
	s_waitcnt vmcnt(1)
	v_cmp_neq_f64_e64 s7, 0, v[52:53]
	v_cmp_neq_f64_e64 s8, 0, v[54:55]
	v_mov_b32_e32 v6, v2
	s_or_b32 vcc_lo, vcc_lo, s4
	s_waitcnt vmcnt(0)
	v_cmp_neq_f64_e64 s4, 0, v[58:59]
	v_cndmask_b32_e32 v4, v1, v47, vcc_lo
	v_cmp_neq_f64_e32 vcc_lo, 0, v[56:57]
	s_or_b32 s5, s5, s6
	v_add_nc_u32_e32 v5, 1, v4
	v_cndmask_b32_e64 v4, v4, v5, s5
	s_or_b32 s5, s7, s8
	v_add_nc_u32_e32 v5, 1, v4
	v_cndmask_b32_e64 v5, v4, v5, s5
	v_mov_b32_e32 v4, v0
	s_or_b32 vcc_lo, vcc_lo, s4
	s_mov_b32 s4, 0
	v_add_nc_u32_e32 v7, 1, v5
	v_cndmask_b32_e32 v5, v5, v7, vcc_lo
	v_mov_b32_e32 v7, v3
.LBB10_15:                              ;   in Loop: Header=BB10_4 Depth=1
	s_andn2_b32 vcc_lo, exec_lo, s4
	s_cbranch_vccnz .LBB10_17
; %bb.16:                               ;   in Loop: Header=BB10_4 Depth=1
	v_add_co_u32 v4, vcc_lo, s16, v43
	v_add_co_ci_u32_e64 v5, null, s17, v44, vcc_lo
	v_add_co_u32 v48, vcc_lo, s16, v37
	v_add_co_ci_u32_e64 v49, null, s17, v38, vcc_lo
	global_load_dwordx4 v[4:7], v[4:5], off offset:1024
	v_add_co_u32 v52, vcc_lo, s16, v29
	global_load_dwordx4 v[48:51], v[48:49], off offset:1024
	v_add_co_ci_u32_e64 v53, null, s17, v30, vcc_lo
	v_add_co_u32 v56, vcc_lo, s16, v21
	v_add_co_ci_u32_e64 v57, null, s17, v22, vcc_lo
	s_clause 0x1
	global_load_dwordx4 v[52:55], v[52:53], off offset:1024
	global_load_dwordx4 v[56:59], v[56:57], off offset:1024
	s_waitcnt vmcnt(3)
	v_cmp_neq_f64_e32 vcc_lo, 0, v[4:5]
	v_cmp_neq_f64_e64 s4, 0, v[6:7]
	s_waitcnt vmcnt(2)
	v_cmp_neq_f64_e64 s5, 0, v[48:49]
	v_cmp_neq_f64_e64 s6, 0, v[50:51]
	s_waitcnt vmcnt(1)
	v_cmp_neq_f64_e64 s7, 0, v[52:53]
	v_cmp_neq_f64_e64 s8, 0, v[54:55]
	s_or_b32 vcc_lo, vcc_lo, s4
	s_waitcnt vmcnt(0)
	v_cmp_neq_f64_e64 s4, 0, v[58:59]
	v_cndmask_b32_e32 v1, v1, v47, vcc_lo
	v_cmp_neq_f64_e32 vcc_lo, 0, v[56:57]
	s_or_b32 s5, s5, s6
	v_add_nc_u32_e32 v4, 1, v1
	v_cndmask_b32_e64 v1, v1, v4, s5
	s_or_b32 s5, s7, s8
	v_add_nc_u32_e32 v4, 1, v1
	v_cndmask_b32_e64 v1, v1, v4, s5
	s_or_b32 vcc_lo, vcc_lo, s4
	v_add_nc_u32_e32 v4, 1, v1
	v_cndmask_b32_e32 v1, v1, v4, vcc_lo
	v_mov_b32_e32 v7, v3
	v_mov_b32_e32 v6, v2
	;; [unrolled: 1-line block ×4, first 2 shown]
.LBB10_17:                              ;   in Loop: Header=BB10_4 Depth=1
	v_mov_b32_e32 v0, v4
	v_mov_b32_e32 v1, v5
	;; [unrolled: 1-line block ×4, first 2 shown]
	s_or_b32 exec_lo, exec_lo, s25
	s_and_saveexec_b32 s25, s2
	s_cbranch_execz .LBB10_7
.LBB10_18:                              ;   in Loop: Header=BB10_4 Depth=1
	v_add_nc_u32_e32 v47, 1, v2
	s_andn2_b32 vcc_lo, exec_lo, s24
	s_mov_b32 s4, -1
                                        ; implicit-def: $vgpr4_vgpr5_vgpr6_vgpr7
	s_cbranch_vccnz .LBB10_20
; %bb.19:                               ;   in Loop: Header=BB10_4 Depth=1
	v_add_co_u32 v56, vcc_lo, s16, v35
	v_add_co_ci_u32_e64 v57, null, s17, v36, vcc_lo
	s_clause 0x3
	global_load_dwordx4 v[4:7], v[56:57], off
	global_load_dwordx4 v[48:51], v[56:57], off offset:16
	global_load_dwordx4 v[52:55], v[56:57], off offset:32
	;; [unrolled: 1-line block ×3, first 2 shown]
	s_waitcnt vmcnt(3)
	v_cmp_neq_f64_e32 vcc_lo, 0, v[4:5]
	v_cmp_neq_f64_e64 s4, 0, v[6:7]
	s_waitcnt vmcnt(2)
	v_cmp_neq_f64_e64 s5, 0, v[48:49]
	v_cmp_neq_f64_e64 s6, 0, v[50:51]
	s_waitcnt vmcnt(1)
	v_cmp_neq_f64_e64 s7, 0, v[52:53]
	v_cmp_neq_f64_e64 s8, 0, v[54:55]
	s_or_b32 vcc_lo, vcc_lo, s4
	s_waitcnt vmcnt(0)
	v_cmp_neq_f64_e64 s4, 0, v[58:59]
	v_cndmask_b32_e32 v4, v2, v47, vcc_lo
	v_cmp_neq_f64_e32 vcc_lo, 0, v[56:57]
	s_or_b32 s5, s5, s6
	v_add_nc_u32_e32 v5, 1, v4
	v_cndmask_b32_e64 v4, v4, v5, s5
	s_or_b32 s5, s7, s8
	v_add_nc_u32_e32 v5, 1, v4
	v_cndmask_b32_e64 v6, v4, v5, s5
	v_mov_b32_e32 v4, v0
	v_mov_b32_e32 v5, v1
	s_or_b32 vcc_lo, vcc_lo, s4
	s_mov_b32 s4, 0
	v_add_nc_u32_e32 v7, 1, v6
	v_cndmask_b32_e32 v6, v6, v7, vcc_lo
	v_mov_b32_e32 v7, v3
.LBB10_20:                              ;   in Loop: Header=BB10_4 Depth=1
	s_andn2_b32 vcc_lo, exec_lo, s4
	s_cbranch_vccnz .LBB10_22
; %bb.21:                               ;   in Loop: Header=BB10_4 Depth=1
	v_add_co_u32 v4, vcc_lo, s16, v41
	v_add_co_ci_u32_e64 v5, null, s17, v42, vcc_lo
	v_add_co_u32 v48, vcc_lo, s16, v33
	v_add_co_ci_u32_e64 v49, null, s17, v34, vcc_lo
	global_load_dwordx4 v[4:7], v[4:5], off
	v_add_co_u32 v52, vcc_lo, s16, v27
	global_load_dwordx4 v[48:51], v[48:49], off
	v_add_co_ci_u32_e64 v53, null, s17, v28, vcc_lo
	v_add_co_u32 v56, vcc_lo, s16, v19
	v_add_co_ci_u32_e64 v57, null, s17, v20, vcc_lo
	s_clause 0x1
	global_load_dwordx4 v[52:55], v[52:53], off
	global_load_dwordx4 v[56:59], v[56:57], off
	s_waitcnt vmcnt(3)
	v_cmp_neq_f64_e32 vcc_lo, 0, v[4:5]
	v_cmp_neq_f64_e64 s4, 0, v[6:7]
	s_waitcnt vmcnt(2)
	v_cmp_neq_f64_e64 s5, 0, v[48:49]
	v_cmp_neq_f64_e64 s6, 0, v[50:51]
	s_waitcnt vmcnt(1)
	v_cmp_neq_f64_e64 s7, 0, v[52:53]
	v_cmp_neq_f64_e64 s8, 0, v[54:55]
	s_or_b32 vcc_lo, vcc_lo, s4
	s_waitcnt vmcnt(0)
	v_cmp_neq_f64_e64 s4, 0, v[58:59]
	v_cndmask_b32_e32 v2, v2, v47, vcc_lo
	v_cmp_neq_f64_e32 vcc_lo, 0, v[56:57]
	s_or_b32 s5, s5, s6
	v_add_nc_u32_e32 v4, 1, v2
	v_cndmask_b32_e64 v2, v2, v4, s5
	s_or_b32 s5, s7, s8
	v_add_nc_u32_e32 v4, 1, v2
	v_cndmask_b32_e64 v2, v2, v4, s5
	s_or_b32 vcc_lo, vcc_lo, s4
	v_add_nc_u32_e32 v4, 1, v2
	v_cndmask_b32_e32 v2, v2, v4, vcc_lo
	v_mov_b32_e32 v7, v3
	v_mov_b32_e32 v5, v1
	;; [unrolled: 1-line block ×4, first 2 shown]
.LBB10_22:                              ;   in Loop: Header=BB10_4 Depth=1
	v_mov_b32_e32 v0, v4
	v_mov_b32_e32 v1, v5
	;; [unrolled: 1-line block ×4, first 2 shown]
	s_or_b32 exec_lo, exec_lo, s25
	s_and_saveexec_b32 s25, s3
	s_cbranch_execz .LBB10_3
.LBB10_23:                              ;   in Loop: Header=BB10_4 Depth=1
	v_add_nc_u32_e32 v47, 1, v3
	s_andn2_b32 vcc_lo, exec_lo, s24
	s_mov_b32 s4, -1
                                        ; implicit-def: $vgpr4_vgpr5_vgpr6_vgpr7
	s_cbranch_vccnz .LBB10_25
; %bb.24:                               ;   in Loop: Header=BB10_4 Depth=1
	v_add_co_u32 v56, vcc_lo, s16, v45
	v_add_co_ci_u32_e64 v57, null, s17, v46, vcc_lo
	s_clause 0x3
	global_load_dwordx4 v[4:7], v[56:57], off
	global_load_dwordx4 v[48:51], v[56:57], off offset:16
	global_load_dwordx4 v[52:55], v[56:57], off offset:32
	;; [unrolled: 1-line block ×3, first 2 shown]
	s_waitcnt vmcnt(3)
	v_cmp_neq_f64_e32 vcc_lo, 0, v[4:5]
	v_cmp_neq_f64_e64 s4, 0, v[6:7]
	s_waitcnt vmcnt(2)
	v_cmp_neq_f64_e64 s5, 0, v[48:49]
	v_cmp_neq_f64_e64 s6, 0, v[50:51]
	s_waitcnt vmcnt(1)
	v_cmp_neq_f64_e64 s7, 0, v[52:53]
	v_cmp_neq_f64_e64 s8, 0, v[54:55]
	s_or_b32 vcc_lo, vcc_lo, s4
	s_waitcnt vmcnt(0)
	v_cmp_neq_f64_e64 s4, 0, v[58:59]
	v_cndmask_b32_e32 v4, v3, v47, vcc_lo
	v_cmp_neq_f64_e32 vcc_lo, 0, v[56:57]
	s_or_b32 s5, s5, s6
	v_add_nc_u32_e32 v5, 1, v4
	v_cndmask_b32_e64 v4, v4, v5, s5
	s_or_b32 s5, s7, s8
	v_add_nc_u32_e32 v5, 1, v4
	v_cndmask_b32_e64 v6, v4, v5, s5
	v_mov_b32_e32 v4, v0
	v_mov_b32_e32 v5, v1
	s_or_b32 vcc_lo, vcc_lo, s4
	s_mov_b32 s4, 0
	v_add_nc_u32_e32 v7, 1, v6
	v_cndmask_b32_e32 v7, v6, v7, vcc_lo
	v_mov_b32_e32 v6, v2
.LBB10_25:                              ;   in Loop: Header=BB10_4 Depth=1
	s_andn2_b32 vcc_lo, exec_lo, s4
	s_cbranch_vccnz .LBB10_2
; %bb.26:                               ;   in Loop: Header=BB10_4 Depth=1
	v_add_co_u32 v4, vcc_lo, s16, v39
	v_add_co_ci_u32_e64 v5, null, s17, v40, vcc_lo
	v_add_co_u32 v48, vcc_lo, s16, v31
	v_add_co_ci_u32_e64 v49, null, s17, v32, vcc_lo
	global_load_dwordx4 v[4:7], v[4:5], off
	v_add_co_u32 v52, vcc_lo, s16, v25
	global_load_dwordx4 v[48:51], v[48:49], off
	v_add_co_ci_u32_e64 v53, null, s17, v26, vcc_lo
	v_add_co_u32 v56, vcc_lo, s16, v14
	v_add_co_ci_u32_e64 v57, null, s17, v15, vcc_lo
	s_clause 0x1
	global_load_dwordx4 v[52:55], v[52:53], off
	global_load_dwordx4 v[56:59], v[56:57], off
	s_waitcnt vmcnt(3)
	v_cmp_neq_f64_e32 vcc_lo, 0, v[4:5]
	v_cmp_neq_f64_e64 s4, 0, v[6:7]
	s_waitcnt vmcnt(2)
	v_cmp_neq_f64_e64 s5, 0, v[48:49]
	v_cmp_neq_f64_e64 s6, 0, v[50:51]
	s_waitcnt vmcnt(1)
	v_cmp_neq_f64_e64 s7, 0, v[52:53]
	v_cmp_neq_f64_e64 s8, 0, v[54:55]
	s_or_b32 vcc_lo, vcc_lo, s4
	s_waitcnt vmcnt(0)
	v_cmp_neq_f64_e64 s4, 0, v[58:59]
	v_cndmask_b32_e32 v3, v3, v47, vcc_lo
	v_cmp_neq_f64_e32 vcc_lo, 0, v[56:57]
	s_or_b32 s5, s5, s6
	v_add_nc_u32_e32 v4, 1, v3
	v_cndmask_b32_e64 v3, v3, v4, s5
	s_or_b32 s5, s7, s8
	v_add_nc_u32_e32 v4, 1, v3
	v_cndmask_b32_e64 v3, v3, v4, s5
	s_or_b32 vcc_lo, vcc_lo, s4
	v_add_nc_u32_e32 v4, 1, v3
	v_cndmask_b32_e32 v3, v3, v4, vcc_lo
	v_mov_b32_e32 v7, v3
	v_mov_b32_e32 v6, v2
	;; [unrolled: 1-line block ×4, first 2 shown]
	s_branch .LBB10_2
.LBB10_27:
	s_or_b32 exec_lo, exec_lo, s23
.LBB10_28:
	s_or_b32 exec_lo, exec_lo, s22
	s_sub_i32 s0, s14, s15
	s_cmp_lt_i32 s0, 1
	s_cbranch_scc1 .LBB10_126
; %bb.29:
	v_mov_b32_e32 v9, 0
	s_cmp_eq_u32 s12, 1
	v_ashrrev_i32_e32 v13, 31, v12
	s_cselect_b32 s2, -1, 0
	s_cmp_lg_u32 s12, 1
	v_lshlrev_b64 v[4:5], 4, v[8:9]
	s_cselect_b32 s1, -1, 0
	s_mov_b32 s3, exec_lo
	v_add_co_u32 v9, s0, s16, v4
	v_add_co_ci_u32_e64 v19, null, s17, v5, s0
	v_cmpx_gt_i32_e64 s13, v12
	s_cbranch_execnz .LBB10_33
; %bb.30:
	s_or_b32 exec_lo, exec_lo, s3
	s_mov_b32 s3, exec_lo
	v_cmpx_gt_i32_e64 s13, v18
	s_cbranch_execnz .LBB10_56
.LBB10_31:
	s_or_b32 exec_lo, exec_lo, s3
	s_mov_b32 s3, exec_lo
	v_cmpx_gt_i32_e64 s13, v11
	s_cbranch_execnz .LBB10_79
.LBB10_32:
	s_or_b32 exec_lo, exec_lo, s3
	s_mov_b32 s3, exec_lo
	v_cmpx_gt_i32_e64 s13, v10
	s_cbranch_execnz .LBB10_102
	s_branch .LBB10_125
.LBB10_33:
	v_mul_lo_u32 v6, s19, v12
	v_mul_lo_u32 v7, s18, v13
	v_mad_u64_u32 v[4:5], null, s18, v12, 0
	s_mov_b32 s4, exec_lo
	v_add3_u32 v5, v5, v7, v6
	v_lshlrev_b64 v[6:7], 4, v[12:13]
	v_lshlrev_b64 v[4:5], 4, v[4:5]
	v_add_co_u32 v20, vcc_lo, s16, v6
	v_add_co_ci_u32_e64 v21, null, s17, v7, vcc_lo
	v_add_co_u32 v14, vcc_lo, v9, v4
	v_add_co_ci_u32_e64 v15, null, v19, v5, vcc_lo
	v_cmpx_gt_i32_e64 s14, v8
	s_cbranch_execz .LBB10_37
; %bb.34:
	v_mov_b32_e32 v4, v14
	v_mov_b32_e32 v5, v15
	s_andn2_b32 vcc_lo, exec_lo, s2
	s_cbranch_vccnz .LBB10_36
; %bb.35:
	v_mad_u64_u32 v[4:5], null, s18, v8, 0
	v_mad_u64_u32 v[5:6], null, s19, v8, v[5:6]
	v_lshlrev_b64 v[4:5], 4, v[4:5]
	v_add_co_u32 v4, vcc_lo, v20, v4
	v_add_co_ci_u32_e64 v5, null, v21, v5, vcc_lo
.LBB10_36:
	global_load_dwordx4 v[4:7], v[4:5], off
	s_waitcnt vmcnt(0)
	v_cmp_neq_f64_e32 vcc_lo, 0, v[4:5]
	v_cmp_neq_f64_e64 s0, 0, v[6:7]
	s_or_b32 vcc_lo, vcc_lo, s0
	v_add_co_ci_u32_e64 v0, null, 0, v0, vcc_lo
.LBB10_37:
	s_or_b32 exec_lo, exec_lo, s4
	v_or_b32_e32 v22, 1, v8
	s_mov_b32 s4, exec_lo
	v_cmpx_gt_i32_e64 s14, v22
	s_cbranch_execz .LBB10_43
; %bb.38:
	s_andn2_b32 vcc_lo, exec_lo, s1
	s_cbranch_vccnz .LBB10_40
; %bb.39:
	global_load_dwordx4 v[4:7], v[14:15], off offset:16
	s_waitcnt vmcnt(0)
	v_cmp_neq_f64_e32 vcc_lo, 0, v[4:5]
	v_cmp_neq_f64_e64 s0, 0, v[6:7]
	v_mov_b32_e32 v7, v3
	v_mov_b32_e32 v4, v0
	v_mov_b32_e32 v6, v2
	v_mov_b32_e32 v5, v1
	s_or_b32 vcc_lo, vcc_lo, s0
	v_add_co_ci_u32_e64 v23, null, 0, v0, vcc_lo
	v_mov_b32_e32 v4, v23
	s_cbranch_execz .LBB10_41
	s_branch .LBB10_42
.LBB10_40:
                                        ; implicit-def: $vgpr4_vgpr5_vgpr6_vgpr7
.LBB10_41:
	v_mad_u64_u32 v[4:5], null, s18, v22, 0
	v_mad_u64_u32 v[5:6], null, s19, v22, v[5:6]
	v_lshlrev_b64 v[4:5], 4, v[4:5]
	v_add_co_u32 v4, vcc_lo, v20, v4
	v_add_co_ci_u32_e64 v5, null, v21, v5, vcc_lo
	global_load_dwordx4 v[4:7], v[4:5], off
	s_waitcnt vmcnt(0)
	v_cmp_neq_f64_e32 vcc_lo, 0, v[4:5]
	v_cmp_neq_f64_e64 s0, 0, v[6:7]
	s_or_b32 vcc_lo, vcc_lo, s0
	v_add_co_ci_u32_e64 v0, null, 0, v0, vcc_lo
	v_mov_b32_e32 v7, v3
	v_mov_b32_e32 v6, v2
	v_mov_b32_e32 v5, v1
	v_mov_b32_e32 v4, v0
.LBB10_42:
	v_mov_b32_e32 v0, v4
	v_mov_b32_e32 v1, v5
	v_mov_b32_e32 v2, v6
	v_mov_b32_e32 v3, v7
.LBB10_43:
	s_or_b32 exec_lo, exec_lo, s4
	v_or_b32_e32 v22, 2, v8
	s_mov_b32 s4, exec_lo
	v_cmpx_gt_i32_e64 s14, v22
	s_cbranch_execz .LBB10_49
; %bb.44:
	s_andn2_b32 vcc_lo, exec_lo, s1
	s_cbranch_vccnz .LBB10_46
; %bb.45:
	global_load_dwordx4 v[4:7], v[14:15], off offset:32
	s_waitcnt vmcnt(0)
	v_cmp_neq_f64_e32 vcc_lo, 0, v[4:5]
	v_cmp_neq_f64_e64 s0, 0, v[6:7]
	v_mov_b32_e32 v7, v3
	v_mov_b32_e32 v4, v0
	v_mov_b32_e32 v6, v2
	v_mov_b32_e32 v5, v1
	s_or_b32 vcc_lo, vcc_lo, s0
	v_add_co_ci_u32_e64 v23, null, 0, v0, vcc_lo
	v_mov_b32_e32 v4, v23
	s_cbranch_execz .LBB10_47
	s_branch .LBB10_48
.LBB10_46:
                                        ; implicit-def: $vgpr4_vgpr5_vgpr6_vgpr7
.LBB10_47:
	v_mad_u64_u32 v[4:5], null, s18, v22, 0
	v_mad_u64_u32 v[5:6], null, s19, v22, v[5:6]
	v_lshlrev_b64 v[4:5], 4, v[4:5]
	v_add_co_u32 v4, vcc_lo, v20, v4
	v_add_co_ci_u32_e64 v5, null, v21, v5, vcc_lo
	global_load_dwordx4 v[4:7], v[4:5], off
	s_waitcnt vmcnt(0)
	v_cmp_neq_f64_e32 vcc_lo, 0, v[4:5]
	v_cmp_neq_f64_e64 s0, 0, v[6:7]
	s_or_b32 vcc_lo, vcc_lo, s0
	v_add_co_ci_u32_e64 v0, null, 0, v0, vcc_lo
	v_mov_b32_e32 v7, v3
	v_mov_b32_e32 v6, v2
	v_mov_b32_e32 v5, v1
	v_mov_b32_e32 v4, v0
.LBB10_48:
	v_mov_b32_e32 v0, v4
	v_mov_b32_e32 v1, v5
	v_mov_b32_e32 v2, v6
	v_mov_b32_e32 v3, v7
.LBB10_49:
	;; [unrolled: 46-line block ×3, first 2 shown]
	s_or_b32 exec_lo, exec_lo, s4
	s_or_b32 exec_lo, exec_lo, s3
	s_mov_b32 s3, exec_lo
	v_cmpx_gt_i32_e64 s13, v18
	s_cbranch_execz .LBB10_31
.LBB10_56:
	v_ashrrev_i32_e32 v6, 31, v18
	v_mul_lo_u32 v7, s19, v18
	v_mad_u64_u32 v[4:5], null, s18, v18, 0
	s_mov_b32 s4, exec_lo
	v_mul_lo_u32 v6, s18, v6
	v_add3_u32 v5, v5, v6, v7
	v_lshlrev_b64 v[6:7], 4, v[12:13]
	v_lshlrev_b64 v[4:5], 4, v[4:5]
	v_add_co_u32 v14, vcc_lo, s16, v6
	v_add_co_ci_u32_e64 v15, null, s17, v7, vcc_lo
	v_add_co_u32 v12, vcc_lo, v9, v4
	v_add_co_ci_u32_e64 v13, null, v19, v5, vcc_lo
	v_cmpx_gt_i32_e64 s14, v8
	s_cbranch_execz .LBB10_60
; %bb.57:
	v_mov_b32_e32 v4, v12
	v_mov_b32_e32 v5, v13
	s_andn2_b32 vcc_lo, exec_lo, s2
	s_cbranch_vccnz .LBB10_59
; %bb.58:
	v_mad_u64_u32 v[4:5], null, s18, v8, 0
	v_mad_u64_u32 v[5:6], null, s19, v8, v[5:6]
	v_lshlrev_b64 v[4:5], 4, v[4:5]
	v_add_co_u32 v4, vcc_lo, v14, v4
	v_add_co_ci_u32_e64 v5, null, v15, v5, vcc_lo
	v_add_co_u32 v4, vcc_lo, 0x400, v4
	v_add_co_ci_u32_e64 v5, null, 0, v5, vcc_lo
.LBB10_59:
	global_load_dwordx4 v[4:7], v[4:5], off
	s_waitcnt vmcnt(0)
	v_cmp_neq_f64_e32 vcc_lo, 0, v[4:5]
	v_cmp_neq_f64_e64 s0, 0, v[6:7]
	s_or_b32 vcc_lo, vcc_lo, s0
	v_add_co_ci_u32_e64 v1, null, 0, v1, vcc_lo
.LBB10_60:
	s_or_b32 exec_lo, exec_lo, s4
	v_or_b32_e32 v18, 1, v8
	s_mov_b32 s4, exec_lo
	v_cmpx_gt_i32_e64 s14, v18
	s_cbranch_execz .LBB10_66
; %bb.61:
	s_andn2_b32 vcc_lo, exec_lo, s1
	s_cbranch_vccnz .LBB10_63
; %bb.62:
	global_load_dwordx4 v[4:7], v[12:13], off offset:16
	s_waitcnt vmcnt(0)
	v_cmp_neq_f64_e32 vcc_lo, 0, v[4:5]
	v_cmp_neq_f64_e64 s0, 0, v[6:7]
	v_mov_b32_e32 v7, v3
	v_mov_b32_e32 v5, v1
	v_mov_b32_e32 v6, v2
	v_mov_b32_e32 v4, v0
	s_or_b32 vcc_lo, vcc_lo, s0
	v_add_co_ci_u32_e64 v20, null, 0, v1, vcc_lo
	v_mov_b32_e32 v5, v20
	s_cbranch_execz .LBB10_64
	s_branch .LBB10_65
.LBB10_63:
                                        ; implicit-def: $vgpr4_vgpr5_vgpr6_vgpr7
.LBB10_64:
	v_mad_u64_u32 v[4:5], null, s18, v18, 0
	v_mad_u64_u32 v[5:6], null, s19, v18, v[5:6]
	v_lshlrev_b64 v[4:5], 4, v[4:5]
	v_add_co_u32 v4, vcc_lo, v14, v4
	v_add_co_ci_u32_e64 v5, null, v15, v5, vcc_lo
	global_load_dwordx4 v[4:7], v[4:5], off offset:1024
	s_waitcnt vmcnt(0)
	v_cmp_neq_f64_e32 vcc_lo, 0, v[4:5]
	v_cmp_neq_f64_e64 s0, 0, v[6:7]
	s_or_b32 vcc_lo, vcc_lo, s0
	v_add_co_ci_u32_e64 v1, null, 0, v1, vcc_lo
	v_mov_b32_e32 v7, v3
	v_mov_b32_e32 v6, v2
	v_mov_b32_e32 v4, v0
	v_mov_b32_e32 v5, v1
.LBB10_65:
	v_mov_b32_e32 v0, v4
	v_mov_b32_e32 v1, v5
	v_mov_b32_e32 v2, v6
	v_mov_b32_e32 v3, v7
.LBB10_66:
	s_or_b32 exec_lo, exec_lo, s4
	v_or_b32_e32 v18, 2, v8
	s_mov_b32 s4, exec_lo
	v_cmpx_gt_i32_e64 s14, v18
	s_cbranch_execz .LBB10_72
; %bb.67:
	s_andn2_b32 vcc_lo, exec_lo, s1
	s_cbranch_vccnz .LBB10_69
; %bb.68:
	global_load_dwordx4 v[4:7], v[12:13], off offset:32
	s_waitcnt vmcnt(0)
	v_cmp_neq_f64_e32 vcc_lo, 0, v[4:5]
	v_cmp_neq_f64_e64 s0, 0, v[6:7]
	v_mov_b32_e32 v7, v3
	v_mov_b32_e32 v5, v1
	v_mov_b32_e32 v6, v2
	v_mov_b32_e32 v4, v0
	s_or_b32 vcc_lo, vcc_lo, s0
	v_add_co_ci_u32_e64 v20, null, 0, v1, vcc_lo
	v_mov_b32_e32 v5, v20
	s_cbranch_execz .LBB10_70
	s_branch .LBB10_71
.LBB10_69:
                                        ; implicit-def: $vgpr4_vgpr5_vgpr6_vgpr7
.LBB10_70:
	v_mad_u64_u32 v[4:5], null, s18, v18, 0
	v_mad_u64_u32 v[5:6], null, s19, v18, v[5:6]
	v_lshlrev_b64 v[4:5], 4, v[4:5]
	v_add_co_u32 v4, vcc_lo, v14, v4
	v_add_co_ci_u32_e64 v5, null, v15, v5, vcc_lo
	global_load_dwordx4 v[4:7], v[4:5], off offset:1024
	s_waitcnt vmcnt(0)
	v_cmp_neq_f64_e32 vcc_lo, 0, v[4:5]
	v_cmp_neq_f64_e64 s0, 0, v[6:7]
	s_or_b32 vcc_lo, vcc_lo, s0
	v_add_co_ci_u32_e64 v1, null, 0, v1, vcc_lo
	v_mov_b32_e32 v7, v3
	v_mov_b32_e32 v6, v2
	v_mov_b32_e32 v4, v0
	v_mov_b32_e32 v5, v1
.LBB10_71:
	v_mov_b32_e32 v0, v4
	v_mov_b32_e32 v1, v5
	v_mov_b32_e32 v2, v6
	v_mov_b32_e32 v3, v7
.LBB10_72:
	;; [unrolled: 46-line block ×3, first 2 shown]
	s_or_b32 exec_lo, exec_lo, s4
	s_or_b32 exec_lo, exec_lo, s3
	s_mov_b32 s3, exec_lo
	v_cmpx_gt_i32_e64 s13, v11
	s_cbranch_execz .LBB10_32
.LBB10_79:
	v_ashrrev_i32_e32 v12, 31, v11
	v_mul_lo_u32 v6, s19, v11
	v_mad_u64_u32 v[4:5], null, s18, v11, 0
	s_mov_b32 s4, exec_lo
	v_mul_lo_u32 v7, s18, v12
	v_add3_u32 v5, v5, v7, v6
	v_lshlrev_b64 v[6:7], 4, v[11:12]
	v_lshlrev_b64 v[4:5], 4, v[4:5]
	v_add_co_u32 v13, vcc_lo, s16, v6
	v_add_co_ci_u32_e64 v14, null, s17, v7, vcc_lo
	v_add_co_u32 v11, vcc_lo, v9, v4
	v_add_co_ci_u32_e64 v12, null, v19, v5, vcc_lo
	v_cmpx_gt_i32_e64 s14, v8
	s_cbranch_execz .LBB10_83
; %bb.80:
	v_mov_b32_e32 v4, v11
	v_mov_b32_e32 v5, v12
	s_andn2_b32 vcc_lo, exec_lo, s2
	s_cbranch_vccnz .LBB10_82
; %bb.81:
	v_mad_u64_u32 v[4:5], null, s18, v8, 0
	v_mad_u64_u32 v[5:6], null, s19, v8, v[5:6]
	v_lshlrev_b64 v[4:5], 4, v[4:5]
	v_add_co_u32 v4, vcc_lo, v13, v4
	v_add_co_ci_u32_e64 v5, null, v14, v5, vcc_lo
.LBB10_82:
	global_load_dwordx4 v[4:7], v[4:5], off
	s_waitcnt vmcnt(0)
	v_cmp_neq_f64_e32 vcc_lo, 0, v[4:5]
	v_cmp_neq_f64_e64 s0, 0, v[6:7]
	s_or_b32 vcc_lo, vcc_lo, s0
	v_add_co_ci_u32_e64 v2, null, 0, v2, vcc_lo
.LBB10_83:
	s_or_b32 exec_lo, exec_lo, s4
	v_or_b32_e32 v15, 1, v8
	s_mov_b32 s4, exec_lo
	v_cmpx_gt_i32_e64 s14, v15
	s_cbranch_execz .LBB10_89
; %bb.84:
	s_andn2_b32 vcc_lo, exec_lo, s1
	s_cbranch_vccnz .LBB10_86
; %bb.85:
	global_load_dwordx4 v[4:7], v[11:12], off offset:16
	s_waitcnt vmcnt(0)
	v_cmp_neq_f64_e32 vcc_lo, 0, v[4:5]
	v_cmp_neq_f64_e64 s0, 0, v[6:7]
	v_mov_b32_e32 v7, v3
	v_mov_b32_e32 v6, v2
	v_mov_b32_e32 v5, v1
	v_mov_b32_e32 v4, v0
	s_or_b32 vcc_lo, vcc_lo, s0
	v_add_co_ci_u32_e64 v18, null, 0, v2, vcc_lo
	v_mov_b32_e32 v6, v18
	s_cbranch_execz .LBB10_87
	s_branch .LBB10_88
.LBB10_86:
                                        ; implicit-def: $vgpr4_vgpr5_vgpr6_vgpr7
.LBB10_87:
	v_mad_u64_u32 v[4:5], null, s18, v15, 0
	v_mad_u64_u32 v[5:6], null, s19, v15, v[5:6]
	v_lshlrev_b64 v[4:5], 4, v[4:5]
	v_add_co_u32 v4, vcc_lo, v13, v4
	v_add_co_ci_u32_e64 v5, null, v14, v5, vcc_lo
	global_load_dwordx4 v[4:7], v[4:5], off
	s_waitcnt vmcnt(0)
	v_cmp_neq_f64_e32 vcc_lo, 0, v[4:5]
	v_cmp_neq_f64_e64 s0, 0, v[6:7]
	s_or_b32 vcc_lo, vcc_lo, s0
	v_add_co_ci_u32_e64 v2, null, 0, v2, vcc_lo
	v_mov_b32_e32 v7, v3
	v_mov_b32_e32 v5, v1
	v_mov_b32_e32 v4, v0
	v_mov_b32_e32 v6, v2
.LBB10_88:
	v_mov_b32_e32 v0, v4
	v_mov_b32_e32 v1, v5
	v_mov_b32_e32 v2, v6
	v_mov_b32_e32 v3, v7
.LBB10_89:
	s_or_b32 exec_lo, exec_lo, s4
	v_or_b32_e32 v15, 2, v8
	s_mov_b32 s4, exec_lo
	v_cmpx_gt_i32_e64 s14, v15
	s_cbranch_execz .LBB10_95
; %bb.90:
	s_andn2_b32 vcc_lo, exec_lo, s1
	s_cbranch_vccnz .LBB10_92
; %bb.91:
	global_load_dwordx4 v[4:7], v[11:12], off offset:32
	s_waitcnt vmcnt(0)
	v_cmp_neq_f64_e32 vcc_lo, 0, v[4:5]
	v_cmp_neq_f64_e64 s0, 0, v[6:7]
	v_mov_b32_e32 v7, v3
	v_mov_b32_e32 v6, v2
	v_mov_b32_e32 v5, v1
	v_mov_b32_e32 v4, v0
	s_or_b32 vcc_lo, vcc_lo, s0
	v_add_co_ci_u32_e64 v18, null, 0, v2, vcc_lo
	v_mov_b32_e32 v6, v18
	s_cbranch_execz .LBB10_93
	s_branch .LBB10_94
.LBB10_92:
                                        ; implicit-def: $vgpr4_vgpr5_vgpr6_vgpr7
.LBB10_93:
	v_mad_u64_u32 v[4:5], null, s18, v15, 0
	v_mad_u64_u32 v[5:6], null, s19, v15, v[5:6]
	v_lshlrev_b64 v[4:5], 4, v[4:5]
	v_add_co_u32 v4, vcc_lo, v13, v4
	v_add_co_ci_u32_e64 v5, null, v14, v5, vcc_lo
	global_load_dwordx4 v[4:7], v[4:5], off
	s_waitcnt vmcnt(0)
	v_cmp_neq_f64_e32 vcc_lo, 0, v[4:5]
	v_cmp_neq_f64_e64 s0, 0, v[6:7]
	s_or_b32 vcc_lo, vcc_lo, s0
	v_add_co_ci_u32_e64 v2, null, 0, v2, vcc_lo
	v_mov_b32_e32 v7, v3
	v_mov_b32_e32 v5, v1
	v_mov_b32_e32 v4, v0
	v_mov_b32_e32 v6, v2
.LBB10_94:
	v_mov_b32_e32 v0, v4
	v_mov_b32_e32 v1, v5
	v_mov_b32_e32 v2, v6
	v_mov_b32_e32 v3, v7
.LBB10_95:
	;; [unrolled: 46-line block ×3, first 2 shown]
	s_or_b32 exec_lo, exec_lo, s4
	s_or_b32 exec_lo, exec_lo, s3
	s_mov_b32 s3, exec_lo
	v_cmpx_gt_i32_e64 s13, v10
	s_cbranch_execz .LBB10_125
.LBB10_102:
	v_ashrrev_i32_e32 v11, 31, v10
	v_mul_lo_u32 v6, s19, v10
	v_mad_u64_u32 v[4:5], null, s18, v10, 0
	s_mov_b32 s4, exec_lo
	v_mul_lo_u32 v7, s18, v11
	v_add3_u32 v5, v5, v7, v6
	v_lshlrev_b64 v[6:7], 4, v[10:11]
	v_lshlrev_b64 v[4:5], 4, v[4:5]
	v_add_co_u32 v11, vcc_lo, s16, v6
	v_add_co_ci_u32_e64 v12, null, s17, v7, vcc_lo
	v_add_co_u32 v9, vcc_lo, v9, v4
	v_add_co_ci_u32_e64 v10, null, v19, v5, vcc_lo
	v_cmpx_gt_i32_e64 s14, v8
	s_cbranch_execz .LBB10_106
; %bb.103:
	v_mov_b32_e32 v4, v9
	v_mov_b32_e32 v5, v10
	s_andn2_b32 vcc_lo, exec_lo, s2
	s_cbranch_vccnz .LBB10_105
; %bb.104:
	v_mad_u64_u32 v[4:5], null, s18, v8, 0
	v_mad_u64_u32 v[5:6], null, s19, v8, v[5:6]
	v_lshlrev_b64 v[4:5], 4, v[4:5]
	v_add_co_u32 v4, vcc_lo, v11, v4
	v_add_co_ci_u32_e64 v5, null, v12, v5, vcc_lo
.LBB10_105:
	global_load_dwordx4 v[4:7], v[4:5], off
	s_waitcnt vmcnt(0)
	v_cmp_neq_f64_e32 vcc_lo, 0, v[4:5]
	v_cmp_neq_f64_e64 s0, 0, v[6:7]
	s_or_b32 vcc_lo, vcc_lo, s0
	v_add_co_ci_u32_e64 v3, null, 0, v3, vcc_lo
.LBB10_106:
	s_or_b32 exec_lo, exec_lo, s4
	v_or_b32_e32 v14, 1, v8
	v_cndmask_b32_e64 v13, 0, 1, s1
	s_mov_b32 s2, exec_lo
	v_cmpx_gt_i32_e64 s14, v14
	s_cbranch_execz .LBB10_112
; %bb.107:
	s_andn2_b32 vcc_lo, exec_lo, s1
	s_cbranch_vccnz .LBB10_109
; %bb.108:
	global_load_dwordx4 v[4:7], v[9:10], off offset:16
	s_waitcnt vmcnt(0)
	v_cmp_neq_f64_e32 vcc_lo, 0, v[4:5]
	v_cmp_neq_f64_e64 s0, 0, v[6:7]
	v_mov_b32_e32 v7, v3
	v_mov_b32_e32 v6, v2
	;; [unrolled: 1-line block ×4, first 2 shown]
	s_or_b32 vcc_lo, vcc_lo, s0
	v_add_co_ci_u32_e64 v15, null, 0, v3, vcc_lo
	v_mov_b32_e32 v7, v15
	s_cbranch_execz .LBB10_110
	s_branch .LBB10_111
.LBB10_109:
                                        ; implicit-def: $vgpr4_vgpr5_vgpr6_vgpr7
.LBB10_110:
	v_mad_u64_u32 v[4:5], null, s18, v14, 0
	v_mad_u64_u32 v[5:6], null, s19, v14, v[5:6]
	v_lshlrev_b64 v[4:5], 4, v[4:5]
	v_add_co_u32 v4, vcc_lo, v11, v4
	v_add_co_ci_u32_e64 v5, null, v12, v5, vcc_lo
	global_load_dwordx4 v[4:7], v[4:5], off
	s_waitcnt vmcnt(0)
	v_cmp_neq_f64_e32 vcc_lo, 0, v[4:5]
	v_cmp_neq_f64_e64 s0, 0, v[6:7]
	s_or_b32 vcc_lo, vcc_lo, s0
	v_add_co_ci_u32_e64 v3, null, 0, v3, vcc_lo
	v_mov_b32_e32 v7, v3
	v_mov_b32_e32 v6, v2
	;; [unrolled: 1-line block ×4, first 2 shown]
.LBB10_111:
	v_mov_b32_e32 v0, v4
	v_mov_b32_e32 v1, v5
	;; [unrolled: 1-line block ×4, first 2 shown]
.LBB10_112:
	s_or_b32 exec_lo, exec_lo, s2
	v_or_b32_e32 v14, 2, v8
	s_mov_b32 s1, exec_lo
	v_cmpx_gt_i32_e64 s14, v14
	s_cbranch_execz .LBB10_118
; %bb.113:
	v_cmp_ne_u32_e32 vcc_lo, 1, v13
	s_cbranch_vccnz .LBB10_115
; %bb.114:
	global_load_dwordx4 v[4:7], v[9:10], off offset:32
	s_waitcnt vmcnt(0)
	v_cmp_neq_f64_e32 vcc_lo, 0, v[4:5]
	v_cmp_neq_f64_e64 s0, 0, v[6:7]
	v_mov_b32_e32 v7, v3
	v_mov_b32_e32 v6, v2
	;; [unrolled: 1-line block ×4, first 2 shown]
	s_or_b32 vcc_lo, vcc_lo, s0
	v_add_co_ci_u32_e64 v15, null, 0, v3, vcc_lo
	v_mov_b32_e32 v7, v15
	s_cbranch_execz .LBB10_116
	s_branch .LBB10_117
.LBB10_115:
                                        ; implicit-def: $vgpr4_vgpr5_vgpr6_vgpr7
.LBB10_116:
	v_mad_u64_u32 v[4:5], null, s18, v14, 0
	v_mad_u64_u32 v[5:6], null, s19, v14, v[5:6]
	v_lshlrev_b64 v[4:5], 4, v[4:5]
	v_add_co_u32 v4, vcc_lo, v11, v4
	v_add_co_ci_u32_e64 v5, null, v12, v5, vcc_lo
	global_load_dwordx4 v[4:7], v[4:5], off
	s_waitcnt vmcnt(0)
	v_cmp_neq_f64_e32 vcc_lo, 0, v[4:5]
	v_cmp_neq_f64_e64 s0, 0, v[6:7]
	s_or_b32 vcc_lo, vcc_lo, s0
	v_add_co_ci_u32_e64 v3, null, 0, v3, vcc_lo
	v_mov_b32_e32 v7, v3
	v_mov_b32_e32 v6, v2
	;; [unrolled: 1-line block ×4, first 2 shown]
.LBB10_117:
	v_mov_b32_e32 v0, v4
	v_mov_b32_e32 v1, v5
	;; [unrolled: 1-line block ×4, first 2 shown]
.LBB10_118:
	s_or_b32 exec_lo, exec_lo, s1
	v_or_b32_e32 v8, 3, v8
	s_mov_b32 s1, exec_lo
	v_cmpx_gt_i32_e64 s14, v8
	s_cbranch_execz .LBB10_124
; %bb.119:
	v_cmp_ne_u32_e32 vcc_lo, 1, v13
	s_cbranch_vccnz .LBB10_121
; %bb.120:
	global_load_dwordx4 v[4:7], v[9:10], off offset:48
	s_waitcnt vmcnt(0)
	v_cmp_neq_f64_e32 vcc_lo, 0, v[4:5]
	v_cmp_neq_f64_e64 s0, 0, v[6:7]
	v_mov_b32_e32 v7, v3
	v_mov_b32_e32 v6, v2
	v_mov_b32_e32 v5, v1
	v_mov_b32_e32 v4, v0
	s_or_b32 vcc_lo, vcc_lo, s0
	v_add_co_ci_u32_e64 v9, null, 0, v3, vcc_lo
	v_mov_b32_e32 v7, v9
	s_cbranch_execz .LBB10_122
	s_branch .LBB10_123
.LBB10_121:
                                        ; implicit-def: $vgpr4_vgpr5_vgpr6_vgpr7
.LBB10_122:
	v_mad_u64_u32 v[4:5], null, s18, v8, 0
	v_mad_u64_u32 v[5:6], null, s19, v8, v[5:6]
	v_lshlrev_b64 v[4:5], 4, v[4:5]
	v_add_co_u32 v4, vcc_lo, v11, v4
	v_add_co_ci_u32_e64 v5, null, v12, v5, vcc_lo
	global_load_dwordx4 v[4:7], v[4:5], off
	s_waitcnt vmcnt(0)
	v_cmp_neq_f64_e32 vcc_lo, 0, v[4:5]
	v_cmp_neq_f64_e64 s0, 0, v[6:7]
	s_or_b32 vcc_lo, vcc_lo, s0
	v_add_co_ci_u32_e64 v3, null, 0, v3, vcc_lo
	v_mov_b32_e32 v7, v3
	v_mov_b32_e32 v6, v2
	;; [unrolled: 1-line block ×4, first 2 shown]
.LBB10_123:
	v_mov_b32_e32 v0, v4
	v_mov_b32_e32 v1, v5
	;; [unrolled: 1-line block ×4, first 2 shown]
.LBB10_124:
	s_or_b32 exec_lo, exec_lo, s1
.LBB10_125:
	s_or_b32 exec_lo, exec_lo, s3
.LBB10_126:
	v_lshlrev_b32_e32 v4, 4, v16
	v_lshlrev_b32_e32 v5, 2, v17
	s_mov_b32 s0, exec_lo
	v_and_or_b32 v4, 0x7ffffc00, v4, v5
	ds_write2st64_b32 v4, v0, v1 offset1:1
	ds_write2st64_b32 v4, v2, v3 offset0:2 offset1:3
	s_waitcnt lgkmcnt(0)
	s_barrier
	buffer_gl0_inv
	v_cmpx_gt_u32_e32 0x100, v16
	s_cbranch_execz .LBB10_129
; %bb.127:
	v_lshlrev_b32_e32 v8, 2, v16
	ds_read2st64_b32 v[0:1], v8 offset1:4
	ds_read2st64_b32 v[2:3], v8 offset0:8 offset1:12
	ds_read2st64_b32 v[4:5], v8 offset0:16 offset1:20
	;; [unrolled: 1-line block ×3, first 2 shown]
	s_waitcnt lgkmcnt(3)
	v_add_nc_u32_e32 v9, v0, v1
	ds_read2st64_b32 v[0:1], v8 offset0:32 offset1:36
	s_waitcnt lgkmcnt(3)
	v_add3_u32 v9, v9, v2, v3
	ds_read2st64_b32 v[2:3], v8 offset0:40 offset1:44
	s_waitcnt lgkmcnt(3)
	v_add3_u32 v9, v9, v4, v5
	ds_read2st64_b32 v[4:5], v8 offset0:48 offset1:52
	s_waitcnt lgkmcnt(3)
	v_add3_u32 v9, v9, v6, v7
	ds_read2st64_b32 v[6:7], v8 offset0:56 offset1:60
	s_waitcnt lgkmcnt(3)
	v_add3_u32 v0, v9, v0, v1
	s_waitcnt lgkmcnt(2)
	v_add3_u32 v0, v0, v2, v3
	s_waitcnt lgkmcnt(1)
	v_add3_u32 v1, v0, v4, v5
	v_add_nc_u32_e32 v0, s9, v16
	s_waitcnt lgkmcnt(0)
	v_add3_u32 v2, v1, v6, v7
	v_cmp_gt_i32_e32 vcc_lo, s13, v0
	ds_write_b32 v8, v2
	s_and_b32 exec_lo, exec_lo, vcc_lo
	s_cbranch_execz .LBB10_129
; %bb.128:
	v_ashrrev_i32_e32 v1, 31, v0
	v_lshlrev_b64 v[0:1], 2, v[0:1]
	v_add_co_u32 v0, vcc_lo, s10, v0
	v_add_co_ci_u32_e64 v1, null, s11, v1, vcc_lo
	global_store_dword v[0:1], v2, off
.LBB10_129:
	s_endpgm
	.section	.rodata,"a",@progbits
	.p2align	6, 0x0
	.amdhsa_kernel _ZN9rocsparseL14nnz_kernel_rowILi64ELi16Eii21rocsparse_complex_numIdEEEv16rocsparse_order_T2_S4_PKT3_lPT1_
		.amdhsa_group_segment_fixed_size 16384
		.amdhsa_private_segment_fixed_size 0
		.amdhsa_kernarg_size 296
		.amdhsa_user_sgpr_count 6
		.amdhsa_user_sgpr_private_segment_buffer 1
		.amdhsa_user_sgpr_dispatch_ptr 0
		.amdhsa_user_sgpr_queue_ptr 0
		.amdhsa_user_sgpr_kernarg_segment_ptr 1
		.amdhsa_user_sgpr_dispatch_id 0
		.amdhsa_user_sgpr_flat_scratch_init 0
		.amdhsa_user_sgpr_private_segment_size 0
		.amdhsa_wavefront_size32 1
		.amdhsa_uses_dynamic_stack 0
		.amdhsa_system_sgpr_private_segment_wavefront_offset 0
		.amdhsa_system_sgpr_workgroup_id_x 1
		.amdhsa_system_sgpr_workgroup_id_y 0
		.amdhsa_system_sgpr_workgroup_id_z 0
		.amdhsa_system_sgpr_workgroup_info 0
		.amdhsa_system_vgpr_workitem_id 1
		.amdhsa_next_free_vgpr 60
		.amdhsa_next_free_sgpr 26
		.amdhsa_reserve_vcc 1
		.amdhsa_reserve_flat_scratch 0
		.amdhsa_float_round_mode_32 0
		.amdhsa_float_round_mode_16_64 0
		.amdhsa_float_denorm_mode_32 3
		.amdhsa_float_denorm_mode_16_64 3
		.amdhsa_dx10_clamp 1
		.amdhsa_ieee_mode 1
		.amdhsa_fp16_overflow 0
		.amdhsa_workgroup_processor_mode 1
		.amdhsa_memory_ordered 1
		.amdhsa_forward_progress 1
		.amdhsa_shared_vgpr_count 0
		.amdhsa_exception_fp_ieee_invalid_op 0
		.amdhsa_exception_fp_denorm_src 0
		.amdhsa_exception_fp_ieee_div_zero 0
		.amdhsa_exception_fp_ieee_overflow 0
		.amdhsa_exception_fp_ieee_underflow 0
		.amdhsa_exception_fp_ieee_inexact 0
		.amdhsa_exception_int_div_zero 0
	.end_amdhsa_kernel
	.section	.text._ZN9rocsparseL14nnz_kernel_rowILi64ELi16Eii21rocsparse_complex_numIdEEEv16rocsparse_order_T2_S4_PKT3_lPT1_,"axG",@progbits,_ZN9rocsparseL14nnz_kernel_rowILi64ELi16Eii21rocsparse_complex_numIdEEEv16rocsparse_order_T2_S4_PKT3_lPT1_,comdat
.Lfunc_end10:
	.size	_ZN9rocsparseL14nnz_kernel_rowILi64ELi16Eii21rocsparse_complex_numIdEEEv16rocsparse_order_T2_S4_PKT3_lPT1_, .Lfunc_end10-_ZN9rocsparseL14nnz_kernel_rowILi64ELi16Eii21rocsparse_complex_numIdEEEv16rocsparse_order_T2_S4_PKT3_lPT1_
                                        ; -- End function
	.set _ZN9rocsparseL14nnz_kernel_rowILi64ELi16Eii21rocsparse_complex_numIdEEEv16rocsparse_order_T2_S4_PKT3_lPT1_.num_vgpr, 60
	.set _ZN9rocsparseL14nnz_kernel_rowILi64ELi16Eii21rocsparse_complex_numIdEEEv16rocsparse_order_T2_S4_PKT3_lPT1_.num_agpr, 0
	.set _ZN9rocsparseL14nnz_kernel_rowILi64ELi16Eii21rocsparse_complex_numIdEEEv16rocsparse_order_T2_S4_PKT3_lPT1_.numbered_sgpr, 26
	.set _ZN9rocsparseL14nnz_kernel_rowILi64ELi16Eii21rocsparse_complex_numIdEEEv16rocsparse_order_T2_S4_PKT3_lPT1_.num_named_barrier, 0
	.set _ZN9rocsparseL14nnz_kernel_rowILi64ELi16Eii21rocsparse_complex_numIdEEEv16rocsparse_order_T2_S4_PKT3_lPT1_.private_seg_size, 0
	.set _ZN9rocsparseL14nnz_kernel_rowILi64ELi16Eii21rocsparse_complex_numIdEEEv16rocsparse_order_T2_S4_PKT3_lPT1_.uses_vcc, 1
	.set _ZN9rocsparseL14nnz_kernel_rowILi64ELi16Eii21rocsparse_complex_numIdEEEv16rocsparse_order_T2_S4_PKT3_lPT1_.uses_flat_scratch, 0
	.set _ZN9rocsparseL14nnz_kernel_rowILi64ELi16Eii21rocsparse_complex_numIdEEEv16rocsparse_order_T2_S4_PKT3_lPT1_.has_dyn_sized_stack, 0
	.set _ZN9rocsparseL14nnz_kernel_rowILi64ELi16Eii21rocsparse_complex_numIdEEEv16rocsparse_order_T2_S4_PKT3_lPT1_.has_recursion, 0
	.set _ZN9rocsparseL14nnz_kernel_rowILi64ELi16Eii21rocsparse_complex_numIdEEEv16rocsparse_order_T2_S4_PKT3_lPT1_.has_indirect_call, 0
	.section	.AMDGPU.csdata,"",@progbits
; Kernel info:
; codeLenInByte = 6856
; TotalNumSgprs: 28
; NumVgprs: 60
; ScratchSize: 0
; MemoryBound: 0
; FloatMode: 240
; IeeeMode: 1
; LDSByteSize: 16384 bytes/workgroup (compile time only)
; SGPRBlocks: 0
; VGPRBlocks: 7
; NumSGPRsForWavesPerEU: 28
; NumVGPRsForWavesPerEU: 60
; Occupancy: 16
; WaveLimiterHint : 0
; COMPUTE_PGM_RSRC2:SCRATCH_EN: 0
; COMPUTE_PGM_RSRC2:USER_SGPR: 6
; COMPUTE_PGM_RSRC2:TRAP_HANDLER: 0
; COMPUTE_PGM_RSRC2:TGID_X_EN: 1
; COMPUTE_PGM_RSRC2:TGID_Y_EN: 0
; COMPUTE_PGM_RSRC2:TGID_Z_EN: 0
; COMPUTE_PGM_RSRC2:TIDIG_COMP_CNT: 1
	.section	.text._ZN9rocsparseL14nnz_kernel_colILi256Eii21rocsparse_complex_numIdEEEv16rocsparse_order_T1_S4_PKT2_lPT0_,"axG",@progbits,_ZN9rocsparseL14nnz_kernel_colILi256Eii21rocsparse_complex_numIdEEEv16rocsparse_order_T1_S4_PKT2_lPT0_,comdat
	.globl	_ZN9rocsparseL14nnz_kernel_colILi256Eii21rocsparse_complex_numIdEEEv16rocsparse_order_T1_S4_PKT2_lPT0_ ; -- Begin function _ZN9rocsparseL14nnz_kernel_colILi256Eii21rocsparse_complex_numIdEEEv16rocsparse_order_T1_S4_PKT2_lPT0_
	.p2align	8
	.type	_ZN9rocsparseL14nnz_kernel_colILi256Eii21rocsparse_complex_numIdEEEv16rocsparse_order_T1_S4_PKT2_lPT0_,@function
_ZN9rocsparseL14nnz_kernel_colILi256Eii21rocsparse_complex_numIdEEEv16rocsparse_order_T1_S4_PKT2_lPT0_: ; @_ZN9rocsparseL14nnz_kernel_colILi256Eii21rocsparse_complex_numIdEEEv16rocsparse_order_T1_S4_PKT2_lPT0_
; %bb.0:
	s_clause 0x1
	s_load_dwordx2 s[2:3], s[4:5], 0x0
	s_load_dwordx4 s[8:11], s[4:5], 0x10
	s_waitcnt lgkmcnt(0)
	s_ashr_i32 s0, s3, 31
	s_lshr_b32 s0, s0, 24
	s_add_i32 s0, s3, s0
	s_and_b32 s12, s0, 0xffffff00
	s_cmp_eq_u32 s2, 1
	s_cbranch_scc1 .LBB11_6
; %bb.1:
	v_mov_b32_e32 v3, 0
	s_cmpk_lt_i32 s3, 0x100
	s_cbranch_scc1 .LBB11_7
; %bb.2:
	v_mad_u64_u32 v[1:2], null, s10, v0, 0
	s_ashr_i32 s7, s6, 31
	s_lshl_b64 s[0:1], s[6:7], 4
	s_add_u32 s0, s8, s0
	s_addc_u32 s1, s9, s1
	v_mad_u64_u32 v[2:3], null, s11, v0, v[2:3]
	v_mov_b32_e32 v3, 0
	s_lshl_b64 s[14:15], s[10:11], 12
	v_lshlrev_b64 v[1:2], 4, v[1:2]
	v_add_co_u32 v1, vcc_lo, s0, v1
	v_add_co_ci_u32_e64 v2, null, s1, v2, vcc_lo
	s_mov_b32 s1, 0
	v_add_co_u32 v1, vcc_lo, v1, 8
	v_add_co_ci_u32_e64 v2, null, 0, v2, vcc_lo
	s_branch .LBB11_4
	.p2align	6
.LBB11_3:                               ;   in Loop: Header=BB11_4 Depth=1
	s_or_b32 exec_lo, exec_lo, s2
	v_add_co_u32 v1, vcc_lo, v1, s14
	v_add_co_ci_u32_e64 v2, null, s15, v2, vcc_lo
	s_addk_i32 s1, 0x100
	s_cmp_ge_i32 s1, s12
	s_cbranch_scc1 .LBB11_7
.LBB11_4:                               ; =>This Inner Loop Header: Depth=1
	v_add_nc_u32_e32 v4, s1, v0
	s_mov_b32 s2, exec_lo
	v_cmpx_gt_i32_e64 s3, v4
	s_cbranch_execz .LBB11_3
; %bb.5:                                ;   in Loop: Header=BB11_4 Depth=1
	global_load_dwordx4 v[4:7], v[1:2], off offset:-8
	s_waitcnt vmcnt(0)
	v_cmp_neq_f64_e32 vcc_lo, 0, v[4:5]
	v_cmp_neq_f64_e64 s0, 0, v[6:7]
	s_or_b32 vcc_lo, vcc_lo, s0
	v_add_co_ci_u32_e64 v3, null, 0, v3, vcc_lo
	s_branch .LBB11_3
.LBB11_6:
	s_mov_b32 s2, 0
                                        ; implicit-def: $vgpr3
                                        ; implicit-def: $vgpr1_vgpr2
	s_cbranch_execnz .LBB11_10
	s_branch .LBB11_16
.LBB11_7:
	v_add_nc_u32_e32 v4, s12, v0
	s_mov_b32 s0, 0
	s_mov_b32 s2, 0
	s_mov_b32 s1, exec_lo
                                        ; implicit-def: $vgpr1_vgpr2
	v_cmpx_gt_i32_e64 s3, v4
	s_xor_b32 s1, exec_lo, s1
	s_cbranch_execz .LBB11_9
; %bb.8:
	v_ashrrev_i32_e32 v5, 31, v4
	v_mul_lo_u32 v6, s11, v4
	v_mad_u64_u32 v[1:2], null, s10, v4, 0
	s_ashr_i32 s7, s6, 31
	v_mul_lo_u32 v4, s10, v5
	s_lshl_b64 s[14:15], s[6:7], 4
	s_mov_b32 s2, exec_lo
	v_add3_u32 v2, v2, v4, v6
	v_lshlrev_b64 v[1:2], 4, v[1:2]
	v_add_co_u32 v1, vcc_lo, s8, v1
	v_add_co_ci_u32_e64 v2, null, s9, v2, vcc_lo
	v_add_co_u32 v1, vcc_lo, v1, s14
	v_add_co_ci_u32_e64 v2, null, s15, v2, vcc_lo
.LBB11_9:
	s_or_b32 exec_lo, exec_lo, s1
	s_and_b32 vcc_lo, exec_lo, s0
	s_cbranch_vccz .LBB11_16
.LBB11_10:
	v_cmp_gt_i32_e32 vcc_lo, s3, v0
	s_ashr_i32 s0, s6, 31
	s_mul_hi_u32 s1, s10, s6
	s_mul_i32 s0, s10, s0
	v_mov_b32_e32 v3, 0
	v_cndmask_b32_e32 v1, 0, v0, vcc_lo
	s_add_i32 s0, s1, s0
	s_mul_i32 s1, s11, s6
	s_mul_i32 s10, s10, s6
	s_add_i32 s11, s0, s1
	v_lshlrev_b32_e32 v4, 4, v1
	s_cmpk_lt_i32 s3, 0x100
	s_cbranch_scc1 .LBB11_13
; %bb.11:
	s_lshl_b64 s[0:1], s[10:11], 4
	v_mov_b32_e32 v3, 0
	s_add_u32 s0, s8, s0
	s_addc_u32 s1, s9, s1
	v_add_co_u32 v1, s0, s0, v4
	v_add_co_ci_u32_e64 v2, null, s1, 0, s0
	s_mov_b32 s7, 0
	v_add_co_u32 v1, vcc_lo, v1, 8
	v_add_co_ci_u32_e64 v2, null, 0, v2, vcc_lo
.LBB11_12:                              ; =>This Inner Loop Header: Depth=1
	global_load_dwordx4 v[5:8], v[1:2], off offset:-8
	v_add_co_u32 v1, s1, 0x1000, v1
	v_add_co_ci_u32_e64 v2, null, 0, v2, s1
	s_addk_i32 s7, 0x100
	s_waitcnt vmcnt(0)
	v_cmp_neq_f64_e32 vcc_lo, 0, v[5:6]
	v_cmp_neq_f64_e64 s0, 0, v[7:8]
	s_or_b32 vcc_lo, vcc_lo, s0
	s_cmp_ge_i32 s7, s12
	v_add_co_ci_u32_e64 v3, null, 0, v3, vcc_lo
	s_cbranch_scc0 .LBB11_12
.LBB11_13:
	v_add_nc_u32_e32 v1, s12, v0
	v_cmp_gt_i32_e32 vcc_lo, s3, v1
                                        ; implicit-def: $vgpr1_vgpr2
	s_and_saveexec_b32 s0, vcc_lo
; %bb.14:
	s_lshl_b64 s[10:11], s[10:11], 4
	s_add_u32 s1, s8, s10
	s_addc_u32 s7, s9, s11
	v_add_co_u32 v1, s1, s1, v4
	s_ashr_i32 s13, s12, 31
	v_add_co_ci_u32_e64 v2, null, s7, 0, s1
	s_lshl_b64 s[8:9], s[12:13], 4
	s_or_b32 s2, s2, exec_lo
	v_add_co_u32 v1, vcc_lo, v1, s8
	v_add_co_ci_u32_e64 v2, null, s9, v2, vcc_lo
; %bb.15:
	s_or_b32 exec_lo, exec_lo, s0
.LBB11_16:
	s_and_saveexec_b32 s1, s2
	s_cbranch_execz .LBB11_18
; %bb.17:
	global_load_dwordx4 v[4:7], v[1:2], off
	s_waitcnt vmcnt(0)
	v_cmp_neq_f64_e32 vcc_lo, 0, v[4:5]
	v_cmp_neq_f64_e64 s0, 0, v[6:7]
	s_or_b32 vcc_lo, vcc_lo, s0
	v_add_co_ci_u32_e64 v3, null, 0, v3, vcc_lo
.LBB11_18:
	s_or_b32 exec_lo, exec_lo, s1
	v_lshlrev_b32_e32 v1, 2, v0
	s_cmpk_lt_i32 s3, 0x100
	s_mov_b32 s0, -1
	v_cmp_eq_u32_e32 vcc_lo, 0, v0
	ds_write_b32 v1, v3
	s_waitcnt lgkmcnt(0)
	s_cbranch_scc0 .LBB11_29
; %bb.19:
	s_cmp_gt_i32 s3, 1
	s_mov_b32 s2, 1
	s_cselect_b32 s0, -1, 0
	s_barrier
	s_and_b32 s1, vcc_lo, s0
	buffer_gl0_inv
	s_and_saveexec_b32 s0, s1
	s_cbranch_execz .LBB11_28
; %bb.20:
	v_mov_b32_e32 v2, 0
	s_add_i32 s7, s3, -2
	s_add_i32 s1, s3, -1
	s_cmp_lt_u32 s7, 7
	ds_read_b32 v2, v2
	s_cbranch_scc1 .LBB11_24
; %bb.21:
	s_and_b32 s2, s1, -8
	s_mov_b32 s7, 0
	s_mov_b32 s3, 4
	.p2align	6
.LBB11_22:                              ; =>This Inner Loop Header: Depth=1
	v_mov_b32_e32 v9, s3
	s_mov_b32 s8, s7
	s_add_i32 s7, s7, 8
	s_add_i32 s3, s3, 32
	s_cmp_lg_u32 s2, s7
	ds_read2_b32 v[3:4], v9 offset1:1
	ds_read2_b32 v[5:6], v9 offset0:2 offset1:3
	ds_read2_b32 v[7:8], v9 offset0:4 offset1:5
	ds_read2_b32 v[9:10], v9 offset0:6 offset1:7
	s_waitcnt lgkmcnt(3)
	v_add_nc_u32_e32 v2, v2, v3
	v_add_nc_u32_e32 v2, v2, v4
	s_waitcnt lgkmcnt(2)
	v_add_nc_u32_e32 v2, v2, v5
	v_add_nc_u32_e32 v2, v2, v6
	s_waitcnt lgkmcnt(1)
	v_add_nc_u32_e32 v2, v2, v7
	v_add_nc_u32_e32 v2, v2, v8
	s_waitcnt lgkmcnt(0)
	v_add_nc_u32_e32 v2, v2, v9
	v_add_nc_u32_e32 v2, v2, v10
	s_cbranch_scc1 .LBB11_22
; %bb.23:
	s_add_i32 s2, s8, 9
.LBB11_24:
	s_and_b32 s1, s1, 7
	s_cmp_eq_u32 s1, 0
	s_cbranch_scc1 .LBB11_27
; %bb.25:
	s_lshl_b32 s2, s2, 2
.LBB11_26:                              ; =>This Inner Loop Header: Depth=1
	v_mov_b32_e32 v3, s2
	s_add_i32 s1, s1, -1
	s_add_i32 s2, s2, 4
	s_cmp_lg_u32 s1, 0
	ds_read_b32 v3, v3
	s_waitcnt lgkmcnt(0)
	v_add_nc_u32_e32 v2, v2, v3
	s_cbranch_scc1 .LBB11_26
.LBB11_27:
	v_mov_b32_e32 v3, 0
	s_waitcnt lgkmcnt(0)
	ds_write_b32 v3, v2
.LBB11_28:
	s_or_b32 exec_lo, exec_lo, s0
	s_mov_b32 s0, 0
	s_waitcnt lgkmcnt(0)
	s_barrier
.LBB11_29:
	s_and_b32 vcc_lo, exec_lo, s0
	s_cbranch_vccz .LBB11_47
; %bb.30:
	s_mov_b32 s0, exec_lo
	s_barrier
	buffer_gl0_inv
	v_cmpx_gt_u32_e32 0x80, v0
	s_cbranch_execz .LBB11_32
; %bb.31:
	ds_read2st64_b32 v[2:3], v1 offset1:2
	s_waitcnt lgkmcnt(0)
	v_add_nc_u32_e32 v2, v2, v3
	ds_write_b32 v1, v2
.LBB11_32:
	s_or_b32 exec_lo, exec_lo, s0
	s_mov_b32 s0, exec_lo
	s_waitcnt lgkmcnt(0)
	s_barrier
	buffer_gl0_inv
	v_cmpx_gt_u32_e32 64, v0
	s_cbranch_execz .LBB11_34
; %bb.33:
	ds_read2st64_b32 v[2:3], v1 offset1:1
	s_waitcnt lgkmcnt(0)
	v_add_nc_u32_e32 v2, v2, v3
	ds_write_b32 v1, v2
.LBB11_34:
	s_or_b32 exec_lo, exec_lo, s0
	s_mov_b32 s0, exec_lo
	s_waitcnt lgkmcnt(0)
	s_barrier
	buffer_gl0_inv
	v_cmpx_gt_u32_e32 32, v0
	s_cbranch_execz .LBB11_36
; %bb.35:
	ds_read2_b32 v[2:3], v1 offset1:32
	s_waitcnt lgkmcnt(0)
	v_add_nc_u32_e32 v2, v2, v3
	ds_write_b32 v1, v2
.LBB11_36:
	s_or_b32 exec_lo, exec_lo, s0
	s_mov_b32 s0, exec_lo
	s_waitcnt lgkmcnt(0)
	s_barrier
	buffer_gl0_inv
	v_cmpx_gt_u32_e32 16, v0
	s_cbranch_execz .LBB11_38
; %bb.37:
	ds_read2_b32 v[2:3], v1 offset1:16
	s_waitcnt lgkmcnt(0)
	v_add_nc_u32_e32 v2, v2, v3
	ds_write_b32 v1, v2
.LBB11_38:
	;; [unrolled: 13-line block ×5, first 2 shown]
	s_or_b32 exec_lo, exec_lo, s0
	s_mov_b32 s0, exec_lo
	s_waitcnt lgkmcnt(0)
	s_barrier
	buffer_gl0_inv
	v_cmpx_eq_u32_e32 0, v0
	s_cbranch_execz .LBB11_46
; %bb.45:
	v_mov_b32_e32 v3, 0
	ds_read_b64 v[1:2], v3
	s_waitcnt lgkmcnt(0)
	v_add_nc_u32_e32 v1, v1, v2
	ds_write_b32 v3, v1
.LBB11_46:
	s_or_b32 exec_lo, exec_lo, s0
	s_waitcnt lgkmcnt(0)
	s_barrier
.LBB11_47:
	buffer_gl0_inv
	s_mov_b32 s0, exec_lo
	v_cmpx_eq_u32_e32 0, v0
	s_cbranch_execz .LBB11_49
; %bb.48:
	v_mov_b32_e32 v0, 0
	s_load_dwordx2 s[0:1], s[4:5], 0x20
	s_ashr_i32 s7, s6, 31
	s_lshl_b64 s[2:3], s[6:7], 2
	ds_read_b32 v1, v0
	s_waitcnt lgkmcnt(0)
	s_add_u32 s0, s0, s2
	s_addc_u32 s1, s1, s3
	global_store_dword v0, v1, s[0:1]
.LBB11_49:
	s_endpgm
	.section	.rodata,"a",@progbits
	.p2align	6, 0x0
	.amdhsa_kernel _ZN9rocsparseL14nnz_kernel_colILi256Eii21rocsparse_complex_numIdEEEv16rocsparse_order_T1_S4_PKT2_lPT0_
		.amdhsa_group_segment_fixed_size 1024
		.amdhsa_private_segment_fixed_size 0
		.amdhsa_kernarg_size 40
		.amdhsa_user_sgpr_count 6
		.amdhsa_user_sgpr_private_segment_buffer 1
		.amdhsa_user_sgpr_dispatch_ptr 0
		.amdhsa_user_sgpr_queue_ptr 0
		.amdhsa_user_sgpr_kernarg_segment_ptr 1
		.amdhsa_user_sgpr_dispatch_id 0
		.amdhsa_user_sgpr_flat_scratch_init 0
		.amdhsa_user_sgpr_private_segment_size 0
		.amdhsa_wavefront_size32 1
		.amdhsa_uses_dynamic_stack 0
		.amdhsa_system_sgpr_private_segment_wavefront_offset 0
		.amdhsa_system_sgpr_workgroup_id_x 1
		.amdhsa_system_sgpr_workgroup_id_y 0
		.amdhsa_system_sgpr_workgroup_id_z 0
		.amdhsa_system_sgpr_workgroup_info 0
		.amdhsa_system_vgpr_workitem_id 0
		.amdhsa_next_free_vgpr 11
		.amdhsa_next_free_sgpr 16
		.amdhsa_reserve_vcc 1
		.amdhsa_reserve_flat_scratch 0
		.amdhsa_float_round_mode_32 0
		.amdhsa_float_round_mode_16_64 0
		.amdhsa_float_denorm_mode_32 3
		.amdhsa_float_denorm_mode_16_64 3
		.amdhsa_dx10_clamp 1
		.amdhsa_ieee_mode 1
		.amdhsa_fp16_overflow 0
		.amdhsa_workgroup_processor_mode 1
		.amdhsa_memory_ordered 1
		.amdhsa_forward_progress 1
		.amdhsa_shared_vgpr_count 0
		.amdhsa_exception_fp_ieee_invalid_op 0
		.amdhsa_exception_fp_denorm_src 0
		.amdhsa_exception_fp_ieee_div_zero 0
		.amdhsa_exception_fp_ieee_overflow 0
		.amdhsa_exception_fp_ieee_underflow 0
		.amdhsa_exception_fp_ieee_inexact 0
		.amdhsa_exception_int_div_zero 0
	.end_amdhsa_kernel
	.section	.text._ZN9rocsparseL14nnz_kernel_colILi256Eii21rocsparse_complex_numIdEEEv16rocsparse_order_T1_S4_PKT2_lPT0_,"axG",@progbits,_ZN9rocsparseL14nnz_kernel_colILi256Eii21rocsparse_complex_numIdEEEv16rocsparse_order_T1_S4_PKT2_lPT0_,comdat
.Lfunc_end11:
	.size	_ZN9rocsparseL14nnz_kernel_colILi256Eii21rocsparse_complex_numIdEEEv16rocsparse_order_T1_S4_PKT2_lPT0_, .Lfunc_end11-_ZN9rocsparseL14nnz_kernel_colILi256Eii21rocsparse_complex_numIdEEEv16rocsparse_order_T1_S4_PKT2_lPT0_
                                        ; -- End function
	.set _ZN9rocsparseL14nnz_kernel_colILi256Eii21rocsparse_complex_numIdEEEv16rocsparse_order_T1_S4_PKT2_lPT0_.num_vgpr, 11
	.set _ZN9rocsparseL14nnz_kernel_colILi256Eii21rocsparse_complex_numIdEEEv16rocsparse_order_T1_S4_PKT2_lPT0_.num_agpr, 0
	.set _ZN9rocsparseL14nnz_kernel_colILi256Eii21rocsparse_complex_numIdEEEv16rocsparse_order_T1_S4_PKT2_lPT0_.numbered_sgpr, 16
	.set _ZN9rocsparseL14nnz_kernel_colILi256Eii21rocsparse_complex_numIdEEEv16rocsparse_order_T1_S4_PKT2_lPT0_.num_named_barrier, 0
	.set _ZN9rocsparseL14nnz_kernel_colILi256Eii21rocsparse_complex_numIdEEEv16rocsparse_order_T1_S4_PKT2_lPT0_.private_seg_size, 0
	.set _ZN9rocsparseL14nnz_kernel_colILi256Eii21rocsparse_complex_numIdEEEv16rocsparse_order_T1_S4_PKT2_lPT0_.uses_vcc, 1
	.set _ZN9rocsparseL14nnz_kernel_colILi256Eii21rocsparse_complex_numIdEEEv16rocsparse_order_T1_S4_PKT2_lPT0_.uses_flat_scratch, 0
	.set _ZN9rocsparseL14nnz_kernel_colILi256Eii21rocsparse_complex_numIdEEEv16rocsparse_order_T1_S4_PKT2_lPT0_.has_dyn_sized_stack, 0
	.set _ZN9rocsparseL14nnz_kernel_colILi256Eii21rocsparse_complex_numIdEEEv16rocsparse_order_T1_S4_PKT2_lPT0_.has_recursion, 0
	.set _ZN9rocsparseL14nnz_kernel_colILi256Eii21rocsparse_complex_numIdEEEv16rocsparse_order_T1_S4_PKT2_lPT0_.has_indirect_call, 0
	.section	.AMDGPU.csdata,"",@progbits
; Kernel info:
; codeLenInByte = 1564
; TotalNumSgprs: 18
; NumVgprs: 11
; ScratchSize: 0
; MemoryBound: 0
; FloatMode: 240
; IeeeMode: 1
; LDSByteSize: 1024 bytes/workgroup (compile time only)
; SGPRBlocks: 0
; VGPRBlocks: 1
; NumSGPRsForWavesPerEU: 18
; NumVGPRsForWavesPerEU: 11
; Occupancy: 16
; WaveLimiterHint : 0
; COMPUTE_PGM_RSRC2:SCRATCH_EN: 0
; COMPUTE_PGM_RSRC2:USER_SGPR: 6
; COMPUTE_PGM_RSRC2:TRAP_HANDLER: 0
; COMPUTE_PGM_RSRC2:TGID_X_EN: 1
; COMPUTE_PGM_RSRC2:TGID_Y_EN: 0
; COMPUTE_PGM_RSRC2:TGID_Z_EN: 0
; COMPUTE_PGM_RSRC2:TIDIG_COMP_CNT: 0
	.section	.text._ZN9rocsparseL14nnz_kernel_rowILi64ELi16Eli18rocsparse_bfloat16EEv16rocsparse_order_T2_S3_PKT3_lPT1_,"axG",@progbits,_ZN9rocsparseL14nnz_kernel_rowILi64ELi16Eli18rocsparse_bfloat16EEv16rocsparse_order_T2_S3_PKT3_lPT1_,comdat
	.globl	_ZN9rocsparseL14nnz_kernel_rowILi64ELi16Eli18rocsparse_bfloat16EEv16rocsparse_order_T2_S3_PKT3_lPT1_ ; -- Begin function _ZN9rocsparseL14nnz_kernel_rowILi64ELi16Eli18rocsparse_bfloat16EEv16rocsparse_order_T2_S3_PKT3_lPT1_
	.p2align	8
	.type	_ZN9rocsparseL14nnz_kernel_rowILi64ELi16Eli18rocsparse_bfloat16EEv16rocsparse_order_T2_S3_PKT3_lPT1_,@function
_ZN9rocsparseL14nnz_kernel_rowILi64ELi16Eli18rocsparse_bfloat16EEv16rocsparse_order_T2_S3_PKT3_lPT1_: ; @_ZN9rocsparseL14nnz_kernel_rowILi64ELi16Eli18rocsparse_bfloat16EEv16rocsparse_order_T2_S3_PKT3_lPT1_
; %bb.0:
	s_clause 0x2
	s_load_dword s0, s[4:5], 0x34
	s_load_dwordx8 s[8:15], s[4:5], 0x0
	s_load_dwordx2 s[16:17], s[4:5], 0x20
	s_lshl_b32 s5, s6, 8
	v_mov_b32_e32 v2, 0
	s_mov_b32 s19, 0
	s_mov_b32 s18, exec_lo
	v_mov_b32_e32 v3, v2
	v_mov_b32_e32 v4, v2
	;; [unrolled: 1-line block ×7, first 2 shown]
	s_waitcnt lgkmcnt(0)
	s_and_b32 s0, s0, 0xffff
	v_mad_u32_u24 v22, v1, s0, v0
	s_ashr_i32 s0, s10, 31
	s_lshr_b32 s0, s0, 26
	s_add_i32 s11, s10, s0
	v_and_b32_e32 v23, 63, v22
	v_lshrrev_b32_e32 v0, 4, v22
	s_andn2_b32 s11, s11, 63
	v_or_b32_e32 v18, s5, v23
	v_and_b32_e32 v0, 0x7ffffc, v0
	v_or_b32_e32 v26, 64, v18
	v_or_b32_e32 v25, 0x80, v18
	;; [unrolled: 1-line block ×3, first 2 shown]
	v_cmpx_gt_i32_e64 s11, v0
	s_cbranch_execz .LBB12_28
; %bb.1:
	v_lshrrev_b32_e32 v31, 6, v22
	v_add_nc_u32_e32 v3, s5, v23
	v_cmp_gt_i32_e64 s0, s9, v18
	v_cmp_gt_i32_e64 s1, s9, v26
	;; [unrolled: 1-line block ×3, first 2 shown]
	v_lshlrev_b32_e32 v27, 2, v31
	v_ashrrev_i32_e32 v4, 31, v3
	v_mul_lo_u32 v16, s15, v3
	v_mad_u64_u32 v[5:6], null, s14, v3, 0
	v_or_b32_e32 v13, 3, v27
	v_mul_lo_u32 v17, s14, v4
	v_or_b32_e32 v19, 2, v27
	v_add_nc_u32_e32 v15, 64, v3
	v_lshlrev_b64 v[9:10], 1, v[3:4]
	v_mad_u64_u32 v[7:8], null, s14, v13, 0
	v_mad_u64_u32 v[11:12], null, s14, v19, 0
	v_ashrrev_i32_e32 v4, 31, v15
	v_add3_u32 v6, v6, v17, v16
	v_mul_lo_u32 v20, s15, v15
	v_lshlrev_b32_e32 v35, 3, v31
	v_mov_b32_e32 v1, v8
	v_mul_lo_u32 v21, s14, v4
	v_lshlrev_b64 v[4:5], 1, v[5:6]
	v_add_nc_u32_e32 v28, 0x80, v3
	v_mad_u64_u32 v[16:17], null, s14, v27, s[14:15]
	v_mad_u64_u32 v[13:14], null, s15, v13, v[1:2]
	;; [unrolled: 1-line block ×3, first 2 shown]
	v_mov_b32_e32 v1, v12
	v_ashrrev_i32_e32 v29, 31, v28
	v_cmp_gt_i32_e64 s3, s9, v24
	v_mov_b32_e32 v39, 0x7fff
	v_mov_b32_e32 v8, v13
	v_mad_u64_u32 v[12:13], null, s15, v19, v[1:2]
	v_add_co_u32 v1, vcc_lo, v4, v35
	v_lshlrev_b64 v[6:7], 1, v[7:8]
	v_add3_u32 v15, v15, v21, v20
	v_add_co_ci_u32_e64 v19, null, 0, v5, vcc_lo
	s_cmp_lg_u32 s8, 1
	v_add_co_u32 v20, vcc_lo, v6, v9
	v_add_co_ci_u32_e64 v21, null, v7, v10, vcc_lo
	v_mad_u64_u32 v[7:8], null, s14, v28, 0
	v_mov_b32_e32 v6, v17
	v_lshlrev_b64 v[4:5], 1, v[14:15]
	v_mul_lo_u32 v15, s14, v29
	v_mul_lo_u32 v17, s15, v28
	s_cselect_b32 s20, -1, 0
	s_lshl_b64 s[6:7], s[14:15], 7
	v_mad_u64_u32 v[13:14], null, s15, v27, v[6:7]
	v_add_nc_u32_e32 v14, 0xc0, v3
	v_add_co_u32 v27, vcc_lo, v4, v35
	v_add_co_ci_u32_e64 v28, null, 0, v5, vcc_lo
	v_lshlrev_b64 v[5:6], 1, v[11:12]
	v_ashrrev_i32_e32 v29, 31, v14
	v_add3_u32 v8, v8, v15, v17
	v_mad_u64_u32 v[3:4], null, s14, v31, 0
	v_mul_lo_u32 v32, s15, v14
	v_mul_lo_u32 v15, s14, v29
	v_add_co_u32 v29, vcc_lo, v5, v9
	v_add_co_ci_u32_e64 v30, null, v6, v10, vcc_lo
	v_lshlrev_b64 v[5:6], 1, v[7:8]
	v_mad_u64_u32 v[11:12], null, s14, v14, 0
	v_mov_b32_e32 v17, v13
	v_mad_u64_u32 v[7:8], null, s15, v31, v[4:5]
	v_lshlrev_b64 v[13:14], 1, v[16:17]
	v_add3_u32 v12, v12, v15, v32
	v_add_co_u32 v31, vcc_lo, v5, v35
	v_add_co_ci_u32_e64 v32, null, 0, v6, vcc_lo
	v_mov_b32_e32 v4, v7
	v_lshlrev_b64 v[5:6], 1, v[11:12]
	v_add_co_u32 v33, vcc_lo, v13, v9
	v_add_co_ci_u32_e64 v34, null, v14, v10, vcc_lo
	v_lshlrev_b64 v[3:4], 3, v[3:4]
	v_add_co_u32 v35, vcc_lo, v5, v35
	v_add_co_ci_u32_e64 v36, null, 0, v6, vcc_lo
	v_mov_b32_e32 v5, v2
	v_add_co_u32 v37, vcc_lo, v3, v9
	v_add_co_ci_u32_e64 v38, null, v4, v10, vcc_lo
	v_mov_b32_e32 v3, v2
	v_mov_b32_e32 v4, v2
	;; [unrolled: 1-line block ×6, first 2 shown]
	s_branch .LBB12_4
.LBB12_2:                               ;   in Loop: Header=BB12_4 Depth=1
	v_mov_b32_e32 v2, v10
	v_mov_b32_e32 v3, v11
	;; [unrolled: 1-line block ×8, first 2 shown]
.LBB12_3:                               ;   in Loop: Header=BB12_4 Depth=1
	s_or_b32 exec_lo, exec_lo, s4
	v_add_co_u32 v1, vcc_lo, 0x80, v1
	v_add_co_ci_u32_e64 v19, null, 0, v19, vcc_lo
	v_add_co_u32 v20, vcc_lo, v20, s6
	v_add_co_ci_u32_e64 v21, null, s7, v21, vcc_lo
	;; [unrolled: 2-line block ×4, first 2 shown]
	v_add_co_u32 v31, vcc_lo, 0x80, v31
	v_add_nc_u32_e32 v0, 64, v0
	v_add_co_ci_u32_e64 v32, null, 0, v32, vcc_lo
	v_add_co_u32 v33, vcc_lo, v33, s6
	v_add_co_ci_u32_e64 v34, null, s7, v34, vcc_lo
	v_add_co_u32 v35, vcc_lo, 0x80, v35
	v_add_co_ci_u32_e64 v36, null, 0, v36, vcc_lo
	v_cmp_le_i32_e32 vcc_lo, s11, v0
	v_add_co_u32 v37, s4, v37, s6
	v_add_co_ci_u32_e64 v38, null, s7, v38, s4
	s_or_b32 s19, vcc_lo, s19
	s_andn2_b32 exec_lo, exec_lo, s19
	s_cbranch_execz .LBB12_27
.LBB12_4:                               ; =>This Inner Loop Header: Depth=1
	s_and_saveexec_b32 s4, s0
	s_cbranch_execnz .LBB12_8
; %bb.5:                                ;   in Loop: Header=BB12_4 Depth=1
	s_or_b32 exec_lo, exec_lo, s4
	s_and_saveexec_b32 s4, s1
	s_cbranch_execnz .LBB12_13
.LBB12_6:                               ;   in Loop: Header=BB12_4 Depth=1
	s_or_b32 exec_lo, exec_lo, s4
	s_and_saveexec_b32 s4, s2
	s_cbranch_execnz .LBB12_18
.LBB12_7:                               ;   in Loop: Header=BB12_4 Depth=1
	s_or_b32 exec_lo, exec_lo, s4
	s_and_saveexec_b32 s4, s3
	s_cbranch_execz .LBB12_3
	s_branch .LBB12_23
.LBB12_8:                               ;   in Loop: Header=BB12_4 Depth=1
	s_andn2_b32 vcc_lo, exec_lo, s20
	s_mov_b32 s21, -1
                                        ; implicit-def: $vgpr10_vgpr11_vgpr12_vgpr13_vgpr14_vgpr15_vgpr16_vgpr17
	s_cbranch_vccnz .LBB12_10
; %bb.9:                                ;   in Loop: Header=BB12_4 Depth=1
	v_add_co_u32 v10, vcc_lo, s12, v1
	v_add_co_ci_u32_e64 v11, null, s13, v19, vcc_lo
	v_add_co_u32 v13, vcc_lo, v2, 1
	v_add_co_ci_u32_e64 v14, null, 0, v3, vcc_lo
	global_load_dwordx2 v[10:11], v[10:11], off
	v_mov_b32_e32 v16, v8
	s_mov_b32 s21, 0
	s_waitcnt vmcnt(0)
	v_and_b32_e32 v12, 0x7fff, v10
	v_and_b32_sdwa v10, v10, v39 dst_sel:DWORD dst_unused:UNUSED_PAD src0_sel:WORD_1 src1_sel:DWORD
	v_cmp_eq_u16_e32 vcc_lo, 0, v12
	v_cndmask_b32_e32 v13, v13, v2, vcc_lo
	v_cndmask_b32_e32 v12, v14, v3, vcc_lo
	v_add_co_u32 v14, vcc_lo, v13, 1
	v_add_co_ci_u32_e64 v15, null, 0, v12, vcc_lo
	v_cmp_eq_u16_e32 vcc_lo, 0, v10
	v_cndmask_b32_e32 v10, v15, v12, vcc_lo
	v_cndmask_b32_e32 v12, v14, v13, vcc_lo
	v_and_b32_e32 v13, 0x7fff, v11
	v_and_b32_sdwa v11, v11, v39 dst_sel:DWORD dst_unused:UNUSED_PAD src0_sel:WORD_1 src1_sel:DWORD
	v_add_co_u32 v14, vcc_lo, v12, 1
	v_add_co_ci_u32_e64 v15, null, 0, v10, vcc_lo
	v_cmp_eq_u16_e32 vcc_lo, 0, v13
	v_mov_b32_e32 v13, v5
	v_cndmask_b32_e32 v17, v14, v12, vcc_lo
	v_cndmask_b32_e32 v10, v15, v10, vcc_lo
	v_mov_b32_e32 v12, v4
	v_mov_b32_e32 v14, v6
	;; [unrolled: 1-line block ×3, first 2 shown]
	v_add_co_u32 v40, vcc_lo, v17, 1
	v_add_co_ci_u32_e64 v41, null, 0, v10, vcc_lo
	v_cmp_eq_u16_e32 vcc_lo, 0, v11
	v_cndmask_b32_e32 v11, v41, v10, vcc_lo
	v_cndmask_b32_e32 v10, v40, v17, vcc_lo
	v_mov_b32_e32 v17, v9
.LBB12_10:                              ;   in Loop: Header=BB12_4 Depth=1
	s_andn2_b32 vcc_lo, exec_lo, s21
	s_cbranch_vccnz .LBB12_12
; %bb.11:                               ;   in Loop: Header=BB12_4 Depth=1
	v_add_co_u32 v10, vcc_lo, s12, v37
	v_add_co_ci_u32_e64 v11, null, s13, v38, vcc_lo
	global_load_ushort v12, v[10:11], off
	v_add_co_u32 v10, vcc_lo, s12, v33
	v_add_co_ci_u32_e64 v11, null, s13, v34, vcc_lo
	global_load_ushort v13, v[10:11], off
	v_add_co_u32 v10, vcc_lo, s12, v29
	v_add_co_ci_u32_e64 v11, null, s13, v30, vcc_lo
	global_load_ushort v14, v[10:11], off
	v_add_co_u32 v10, vcc_lo, s12, v20
	v_add_co_ci_u32_e64 v11, null, s13, v21, vcc_lo
	global_load_ushort v10, v[10:11], off
	s_waitcnt vmcnt(3)
	v_and_b32_e32 v11, 0x7fff, v12
	v_add_co_u32 v12, vcc_lo, v2, 1
	v_add_co_ci_u32_e64 v15, null, 0, v3, vcc_lo
	v_cmp_eq_u16_e32 vcc_lo, 0, v11
	s_waitcnt vmcnt(2)
	v_and_b32_e32 v11, 0x7fff, v13
	v_cndmask_b32_e32 v2, v12, v2, vcc_lo
	v_cndmask_b32_e32 v3, v15, v3, vcc_lo
	v_add_co_u32 v12, vcc_lo, v2, 1
	v_add_co_ci_u32_e64 v13, null, 0, v3, vcc_lo
	v_cmp_eq_u16_e32 vcc_lo, 0, v11
	s_waitcnt vmcnt(1)
	v_and_b32_e32 v11, 0x7fff, v14
	s_waitcnt vmcnt(0)
	v_and_b32_e32 v10, 0x7fff, v10
	v_cndmask_b32_e32 v2, v12, v2, vcc_lo
	v_cndmask_b32_e32 v3, v13, v3, vcc_lo
	v_add_co_u32 v12, vcc_lo, v2, 1
	v_add_co_ci_u32_e64 v13, null, 0, v3, vcc_lo
	v_cmp_eq_u16_e32 vcc_lo, 0, v11
	v_cndmask_b32_e32 v2, v12, v2, vcc_lo
	v_cndmask_b32_e32 v3, v13, v3, vcc_lo
	v_add_co_u32 v11, vcc_lo, v2, 1
	v_add_co_ci_u32_e64 v12, null, 0, v3, vcc_lo
	v_cmp_eq_u16_e32 vcc_lo, 0, v10
	v_cndmask_b32_e32 v3, v12, v3, vcc_lo
	v_cndmask_b32_e32 v2, v11, v2, vcc_lo
	v_mov_b32_e32 v17, v9
	v_mov_b32_e32 v16, v8
	;; [unrolled: 1-line block ×8, first 2 shown]
.LBB12_12:                              ;   in Loop: Header=BB12_4 Depth=1
	v_mov_b32_e32 v2, v10
	v_mov_b32_e32 v3, v11
	;; [unrolled: 1-line block ×8, first 2 shown]
	s_or_b32 exec_lo, exec_lo, s4
	s_and_saveexec_b32 s4, s1
	s_cbranch_execz .LBB12_6
.LBB12_13:                              ;   in Loop: Header=BB12_4 Depth=1
	s_andn2_b32 vcc_lo, exec_lo, s20
	s_mov_b32 s21, -1
                                        ; implicit-def: $vgpr10_vgpr11_vgpr12_vgpr13_vgpr14_vgpr15_vgpr16_vgpr17
	s_cbranch_vccnz .LBB12_15
; %bb.14:                               ;   in Loop: Header=BB12_4 Depth=1
	v_add_co_u32 v10, vcc_lo, s12, v27
	v_add_co_ci_u32_e64 v11, null, s13, v28, vcc_lo
	v_add_co_u32 v13, vcc_lo, v4, 1
	v_add_co_ci_u32_e64 v14, null, 0, v5, vcc_lo
	global_load_dwordx2 v[11:12], v[10:11], off
	v_mov_b32_e32 v16, v8
	s_mov_b32 s21, 0
	s_waitcnt vmcnt(0)
	v_and_b32_e32 v10, 0x7fff, v11
	v_and_b32_sdwa v11, v11, v39 dst_sel:DWORD dst_unused:UNUSED_PAD src0_sel:WORD_1 src1_sel:DWORD
	v_cmp_eq_u16_e32 vcc_lo, 0, v10
	v_cndmask_b32_e32 v13, v13, v4, vcc_lo
	v_cndmask_b32_e32 v10, v14, v5, vcc_lo
	v_add_co_u32 v14, vcc_lo, v13, 1
	v_add_co_ci_u32_e64 v15, null, 0, v10, vcc_lo
	v_cmp_eq_u16_e32 vcc_lo, 0, v11
	v_cndmask_b32_e32 v11, v14, v13, vcc_lo
	v_cndmask_b32_e32 v10, v15, v10, vcc_lo
	v_and_b32_e32 v13, 0x7fff, v12
	v_and_b32_sdwa v12, v12, v39 dst_sel:DWORD dst_unused:UNUSED_PAD src0_sel:WORD_1 src1_sel:DWORD
	v_add_co_u32 v14, vcc_lo, v11, 1
	v_add_co_ci_u32_e64 v15, null, 0, v10, vcc_lo
	v_cmp_eq_u16_e32 vcc_lo, 0, v13
	v_cndmask_b32_e32 v17, v14, v11, vcc_lo
	v_cndmask_b32_e32 v13, v15, v10, vcc_lo
	v_mov_b32_e32 v10, v2
	v_mov_b32_e32 v11, v3
	v_mov_b32_e32 v14, v6
	v_add_co_u32 v40, vcc_lo, v17, 1
	v_add_co_ci_u32_e64 v41, null, 0, v13, vcc_lo
	v_cmp_eq_u16_e32 vcc_lo, 0, v12
	v_mov_b32_e32 v15, v7
	v_cndmask_b32_e32 v13, v41, v13, vcc_lo
	v_cndmask_b32_e32 v12, v40, v17, vcc_lo
	v_mov_b32_e32 v17, v9
.LBB12_15:                              ;   in Loop: Header=BB12_4 Depth=1
	s_andn2_b32 vcc_lo, exec_lo, s21
	s_cbranch_vccnz .LBB12_17
; %bb.16:                               ;   in Loop: Header=BB12_4 Depth=1
	v_add_co_u32 v10, vcc_lo, s12, v37
	v_add_co_ci_u32_e64 v11, null, s13, v38, vcc_lo
	global_load_ushort v12, v[10:11], off offset:128
	v_add_co_u32 v10, vcc_lo, s12, v33
	v_add_co_ci_u32_e64 v11, null, s13, v34, vcc_lo
	global_load_ushort v13, v[10:11], off offset:128
	;; [unrolled: 3-line block ×4, first 2 shown]
	s_waitcnt vmcnt(3)
	v_and_b32_e32 v11, 0x7fff, v12
	v_add_co_u32 v12, vcc_lo, v4, 1
	v_add_co_ci_u32_e64 v15, null, 0, v5, vcc_lo
	v_cmp_eq_u16_e32 vcc_lo, 0, v11
	s_waitcnt vmcnt(2)
	v_and_b32_e32 v11, 0x7fff, v13
	v_cndmask_b32_e32 v4, v12, v4, vcc_lo
	v_cndmask_b32_e32 v5, v15, v5, vcc_lo
	v_add_co_u32 v12, vcc_lo, v4, 1
	v_add_co_ci_u32_e64 v13, null, 0, v5, vcc_lo
	v_cmp_eq_u16_e32 vcc_lo, 0, v11
	s_waitcnt vmcnt(1)
	v_and_b32_e32 v11, 0x7fff, v14
	s_waitcnt vmcnt(0)
	v_and_b32_e32 v10, 0x7fff, v10
	v_cndmask_b32_e32 v4, v12, v4, vcc_lo
	v_cndmask_b32_e32 v5, v13, v5, vcc_lo
	v_add_co_u32 v12, vcc_lo, v4, 1
	v_add_co_ci_u32_e64 v13, null, 0, v5, vcc_lo
	v_cmp_eq_u16_e32 vcc_lo, 0, v11
	v_cndmask_b32_e32 v4, v12, v4, vcc_lo
	v_cndmask_b32_e32 v5, v13, v5, vcc_lo
	v_add_co_u32 v11, vcc_lo, v4, 1
	v_add_co_ci_u32_e64 v12, null, 0, v5, vcc_lo
	v_cmp_eq_u16_e32 vcc_lo, 0, v10
	v_cndmask_b32_e32 v5, v12, v5, vcc_lo
	v_cndmask_b32_e32 v4, v11, v4, vcc_lo
	v_mov_b32_e32 v17, v9
	v_mov_b32_e32 v16, v8
	v_mov_b32_e32 v15, v7
	v_mov_b32_e32 v14, v6
	v_mov_b32_e32 v13, v5
	v_mov_b32_e32 v12, v4
	v_mov_b32_e32 v11, v3
	v_mov_b32_e32 v10, v2
.LBB12_17:                              ;   in Loop: Header=BB12_4 Depth=1
	v_mov_b32_e32 v2, v10
	v_mov_b32_e32 v3, v11
	;; [unrolled: 1-line block ×8, first 2 shown]
	s_or_b32 exec_lo, exec_lo, s4
	s_and_saveexec_b32 s4, s2
	s_cbranch_execz .LBB12_7
.LBB12_18:                              ;   in Loop: Header=BB12_4 Depth=1
	s_andn2_b32 vcc_lo, exec_lo, s20
	s_mov_b32 s21, -1
                                        ; implicit-def: $vgpr10_vgpr11_vgpr12_vgpr13_vgpr14_vgpr15_vgpr16_vgpr17
	s_cbranch_vccnz .LBB12_20
; %bb.19:                               ;   in Loop: Header=BB12_4 Depth=1
	v_add_co_u32 v10, vcc_lo, s12, v31
	v_add_co_ci_u32_e64 v11, null, s13, v32, vcc_lo
	v_add_co_u32 v13, vcc_lo, v6, 1
	v_add_co_ci_u32_e64 v14, null, 0, v7, vcc_lo
	global_load_dwordx2 v[11:12], v[10:11], off
	v_mov_b32_e32 v16, v8
	s_mov_b32 s21, 0
	s_waitcnt vmcnt(0)
	v_and_b32_e32 v10, 0x7fff, v11
	v_and_b32_sdwa v11, v11, v39 dst_sel:DWORD dst_unused:UNUSED_PAD src0_sel:WORD_1 src1_sel:DWORD
	v_cmp_eq_u16_e32 vcc_lo, 0, v10
	v_cndmask_b32_e32 v13, v13, v6, vcc_lo
	v_cndmask_b32_e32 v10, v14, v7, vcc_lo
	v_add_co_u32 v14, vcc_lo, v13, 1
	v_add_co_ci_u32_e64 v15, null, 0, v10, vcc_lo
	v_cmp_eq_u16_e32 vcc_lo, 0, v11
	v_cndmask_b32_e32 v11, v14, v13, vcc_lo
	v_cndmask_b32_e32 v10, v15, v10, vcc_lo
	v_and_b32_e32 v13, 0x7fff, v12
	v_and_b32_sdwa v12, v12, v39 dst_sel:DWORD dst_unused:UNUSED_PAD src0_sel:WORD_1 src1_sel:DWORD
	v_add_co_u32 v14, vcc_lo, v11, 1
	v_add_co_ci_u32_e64 v15, null, 0, v10, vcc_lo
	v_cmp_eq_u16_e32 vcc_lo, 0, v13
	v_mov_b32_e32 v13, v5
	v_cndmask_b32_e32 v14, v14, v11, vcc_lo
	v_cndmask_b32_e32 v15, v15, v10, vcc_lo
	v_mov_b32_e32 v10, v2
	v_mov_b32_e32 v11, v3
	v_add_co_u32 v17, vcc_lo, v14, 1
	v_add_co_ci_u32_e64 v40, null, 0, v15, vcc_lo
	v_cmp_eq_u16_e32 vcc_lo, 0, v12
	v_mov_b32_e32 v12, v4
	v_cndmask_b32_e32 v15, v40, v15, vcc_lo
	v_cndmask_b32_e32 v14, v17, v14, vcc_lo
	v_mov_b32_e32 v17, v9
.LBB12_20:                              ;   in Loop: Header=BB12_4 Depth=1
	s_andn2_b32 vcc_lo, exec_lo, s21
	s_cbranch_vccnz .LBB12_22
; %bb.21:                               ;   in Loop: Header=BB12_4 Depth=1
	v_add_co_u32 v10, vcc_lo, s12, v37
	v_add_co_ci_u32_e64 v11, null, s13, v38, vcc_lo
	global_load_ushort v12, v[10:11], off offset:256
	v_add_co_u32 v10, vcc_lo, s12, v33
	v_add_co_ci_u32_e64 v11, null, s13, v34, vcc_lo
	global_load_ushort v13, v[10:11], off offset:256
	;; [unrolled: 3-line block ×4, first 2 shown]
	s_waitcnt vmcnt(3)
	v_and_b32_e32 v11, 0x7fff, v12
	v_add_co_u32 v12, vcc_lo, v6, 1
	v_add_co_ci_u32_e64 v15, null, 0, v7, vcc_lo
	v_cmp_eq_u16_e32 vcc_lo, 0, v11
	s_waitcnt vmcnt(2)
	v_and_b32_e32 v11, 0x7fff, v13
	v_cndmask_b32_e32 v6, v12, v6, vcc_lo
	v_cndmask_b32_e32 v7, v15, v7, vcc_lo
	v_add_co_u32 v12, vcc_lo, v6, 1
	v_add_co_ci_u32_e64 v13, null, 0, v7, vcc_lo
	v_cmp_eq_u16_e32 vcc_lo, 0, v11
	s_waitcnt vmcnt(1)
	v_and_b32_e32 v11, 0x7fff, v14
	s_waitcnt vmcnt(0)
	v_and_b32_e32 v10, 0x7fff, v10
	v_cndmask_b32_e32 v6, v12, v6, vcc_lo
	v_cndmask_b32_e32 v7, v13, v7, vcc_lo
	v_add_co_u32 v12, vcc_lo, v6, 1
	v_add_co_ci_u32_e64 v13, null, 0, v7, vcc_lo
	v_cmp_eq_u16_e32 vcc_lo, 0, v11
	v_cndmask_b32_e32 v6, v12, v6, vcc_lo
	v_cndmask_b32_e32 v7, v13, v7, vcc_lo
	v_add_co_u32 v11, vcc_lo, v6, 1
	v_add_co_ci_u32_e64 v12, null, 0, v7, vcc_lo
	v_cmp_eq_u16_e32 vcc_lo, 0, v10
	v_cndmask_b32_e32 v7, v12, v7, vcc_lo
	v_cndmask_b32_e32 v6, v11, v6, vcc_lo
	v_mov_b32_e32 v17, v9
	v_mov_b32_e32 v16, v8
	;; [unrolled: 1-line block ×8, first 2 shown]
.LBB12_22:                              ;   in Loop: Header=BB12_4 Depth=1
	v_mov_b32_e32 v2, v10
	v_mov_b32_e32 v3, v11
	;; [unrolled: 1-line block ×8, first 2 shown]
	s_or_b32 exec_lo, exec_lo, s4
	s_and_saveexec_b32 s4, s3
	s_cbranch_execz .LBB12_3
.LBB12_23:                              ;   in Loop: Header=BB12_4 Depth=1
	s_andn2_b32 vcc_lo, exec_lo, s20
	s_mov_b32 s21, -1
                                        ; implicit-def: $vgpr10_vgpr11_vgpr12_vgpr13_vgpr14_vgpr15_vgpr16_vgpr17
	s_cbranch_vccnz .LBB12_25
; %bb.24:                               ;   in Loop: Header=BB12_4 Depth=1
	v_add_co_u32 v10, vcc_lo, s12, v35
	v_add_co_ci_u32_e64 v11, null, s13, v36, vcc_lo
	v_add_co_u32 v13, vcc_lo, v8, 1
	v_add_co_ci_u32_e64 v14, null, 0, v9, vcc_lo
	global_load_dwordx2 v[11:12], v[10:11], off
	s_mov_b32 s21, 0
	s_waitcnt vmcnt(0)
	v_and_b32_e32 v10, 0x7fff, v11
	v_and_b32_sdwa v11, v11, v39 dst_sel:DWORD dst_unused:UNUSED_PAD src0_sel:WORD_1 src1_sel:DWORD
	v_cmp_eq_u16_e32 vcc_lo, 0, v10
	v_cndmask_b32_e32 v13, v13, v8, vcc_lo
	v_cndmask_b32_e32 v10, v14, v9, vcc_lo
	v_add_co_u32 v14, vcc_lo, v13, 1
	v_add_co_ci_u32_e64 v15, null, 0, v10, vcc_lo
	v_cmp_eq_u16_e32 vcc_lo, 0, v11
	v_cndmask_b32_e32 v11, v14, v13, vcc_lo
	v_cndmask_b32_e32 v10, v15, v10, vcc_lo
	v_and_b32_e32 v13, 0x7fff, v12
	v_and_b32_sdwa v12, v12, v39 dst_sel:DWORD dst_unused:UNUSED_PAD src0_sel:WORD_1 src1_sel:DWORD
	v_add_co_u32 v14, vcc_lo, v11, 1
	v_add_co_ci_u32_e64 v15, null, 0, v10, vcc_lo
	v_cmp_eq_u16_e32 vcc_lo, 0, v13
	v_mov_b32_e32 v13, v5
	v_cndmask_b32_e32 v16, v14, v11, vcc_lo
	v_cndmask_b32_e32 v15, v15, v10, vcc_lo
	v_mov_b32_e32 v10, v2
	v_mov_b32_e32 v11, v3
	;; [unrolled: 1-line block ×3, first 2 shown]
	v_add_co_u32 v40, vcc_lo, v16, 1
	v_add_co_ci_u32_e64 v17, null, 0, v15, vcc_lo
	v_cmp_eq_u16_e32 vcc_lo, 0, v12
	v_mov_b32_e32 v12, v4
	v_cndmask_b32_e32 v17, v17, v15, vcc_lo
	v_cndmask_b32_e32 v16, v40, v16, vcc_lo
	v_mov_b32_e32 v15, v7
.LBB12_25:                              ;   in Loop: Header=BB12_4 Depth=1
	s_andn2_b32 vcc_lo, exec_lo, s21
	s_cbranch_vccnz .LBB12_2
; %bb.26:                               ;   in Loop: Header=BB12_4 Depth=1
	v_add_co_u32 v10, vcc_lo, s12, v37
	v_add_co_ci_u32_e64 v11, null, s13, v38, vcc_lo
	global_load_ushort v12, v[10:11], off offset:384
	v_add_co_u32 v10, vcc_lo, s12, v33
	v_add_co_ci_u32_e64 v11, null, s13, v34, vcc_lo
	global_load_ushort v13, v[10:11], off offset:384
	;; [unrolled: 3-line block ×4, first 2 shown]
	s_waitcnt vmcnt(3)
	v_and_b32_e32 v11, 0x7fff, v12
	v_add_co_u32 v12, vcc_lo, v8, 1
	v_add_co_ci_u32_e64 v15, null, 0, v9, vcc_lo
	v_cmp_eq_u16_e32 vcc_lo, 0, v11
	s_waitcnt vmcnt(2)
	v_and_b32_e32 v11, 0x7fff, v13
	v_cndmask_b32_e32 v8, v12, v8, vcc_lo
	v_cndmask_b32_e32 v9, v15, v9, vcc_lo
	v_add_co_u32 v12, vcc_lo, v8, 1
	v_add_co_ci_u32_e64 v13, null, 0, v9, vcc_lo
	v_cmp_eq_u16_e32 vcc_lo, 0, v11
	s_waitcnt vmcnt(1)
	v_and_b32_e32 v11, 0x7fff, v14
	s_waitcnt vmcnt(0)
	v_and_b32_e32 v10, 0x7fff, v10
	v_cndmask_b32_e32 v8, v12, v8, vcc_lo
	v_cndmask_b32_e32 v9, v13, v9, vcc_lo
	v_add_co_u32 v12, vcc_lo, v8, 1
	v_add_co_ci_u32_e64 v13, null, 0, v9, vcc_lo
	v_cmp_eq_u16_e32 vcc_lo, 0, v11
	v_cndmask_b32_e32 v8, v12, v8, vcc_lo
	v_cndmask_b32_e32 v9, v13, v9, vcc_lo
	v_add_co_u32 v11, vcc_lo, v8, 1
	v_add_co_ci_u32_e64 v12, null, 0, v9, vcc_lo
	v_cmp_eq_u16_e32 vcc_lo, 0, v10
	v_cndmask_b32_e32 v9, v12, v9, vcc_lo
	v_cndmask_b32_e32 v8, v11, v8, vcc_lo
	v_mov_b32_e32 v17, v9
	v_mov_b32_e32 v16, v8
	;; [unrolled: 1-line block ×8, first 2 shown]
	s_branch .LBB12_2
.LBB12_27:
	s_or_b32 exec_lo, exec_lo, s19
.LBB12_28:
	s_or_b32 exec_lo, exec_lo, s18
	s_sub_i32 s0, s10, s11
	s_cmp_lt_i32 s0, 1
	s_cbranch_scc1 .LBB12_134
; %bb.29:
	v_mov_b32_e32 v1, 0
	v_ashrrev_i32_e32 v19, 31, v18
	s_cmp_lg_u32 s8, 1
	s_cselect_b32 s1, -1, 0
	v_lshlrev_b64 v[10:11], 1, v[0:1]
	v_add_co_u32 v1, s0, s12, v10
	v_add_co_ci_u32_e64 v27, null, s13, v11, s0
	s_mov_b32 s0, exec_lo
	v_cmpx_gt_i32_e64 s9, v18
	s_cbranch_execnz .LBB12_33
; %bb.30:
	s_or_b32 exec_lo, exec_lo, s0
	s_mov_b32 s0, exec_lo
	v_cmpx_gt_i32_e64 s9, v26
	s_cbranch_execnz .LBB12_58
.LBB12_31:
	s_or_b32 exec_lo, exec_lo, s0
	s_mov_b32 s0, exec_lo
	v_cmpx_gt_i32_e64 s9, v25
	s_cbranch_execnz .LBB12_83
.LBB12_32:
	s_or_b32 exec_lo, exec_lo, s0
	s_mov_b32 s2, exec_lo
	v_cmpx_gt_i32_e64 s9, v24
	s_cbranch_execnz .LBB12_108
	s_branch .LBB12_133
.LBB12_33:
	v_mul_lo_u32 v12, s15, v18
	v_mul_lo_u32 v13, s14, v19
	v_mad_u64_u32 v[10:11], null, s14, v18, 0
	s_mov_b32 s2, exec_lo
	v_add3_u32 v11, v11, v13, v12
	v_lshlrev_b64 v[12:13], 1, v[18:19]
	v_lshlrev_b64 v[10:11], 1, v[10:11]
	v_add_co_u32 v28, vcc_lo, s12, v12
	v_add_co_ci_u32_e64 v29, null, s13, v13, vcc_lo
	v_add_co_u32 v20, vcc_lo, v1, v10
	v_add_co_ci_u32_e64 v21, null, v27, v11, vcc_lo
	v_cmpx_gt_i32_e64 s10, v0
	s_cbranch_execz .LBB12_39
; %bb.34:
	s_and_b32 vcc_lo, exec_lo, s1
	s_cbranch_vccz .LBB12_36
; %bb.35:
	global_load_ushort v10, v[20:21], off
	s_waitcnt vmcnt(0)
	v_and_b32_e32 v10, 0x7fff, v10
	v_cmp_ne_u16_e32 vcc_lo, 0, v10
	v_cndmask_b32_e64 v10, 0, 1, vcc_lo
	v_add_co_u32 v30, vcc_lo, v2, v10
	v_add_co_ci_u32_e64 v31, null, 0, v3, vcc_lo
	v_mov_b32_e32 v17, v9
	v_mov_b32_e32 v11, v3
	v_mov_b32_e32 v10, v2
	v_mov_b32_e32 v16, v8
	v_mov_b32_e32 v15, v7
	v_mov_b32_e32 v14, v6
	v_mov_b32_e32 v13, v5
	v_mov_b32_e32 v12, v4
	v_mov_b32_e32 v10, v30
	v_mov_b32_e32 v11, v31
	s_cbranch_execz .LBB12_37
	s_branch .LBB12_38
.LBB12_36:
                                        ; implicit-def: $vgpr10_vgpr11_vgpr12_vgpr13_vgpr14_vgpr15_vgpr16_vgpr17
.LBB12_37:
	v_mad_u64_u32 v[10:11], null, s14, v0, 0
	v_mad_u64_u32 v[11:12], null, s15, v0, v[11:12]
	v_lshlrev_b64 v[10:11], 1, v[10:11]
	v_add_co_u32 v10, vcc_lo, v28, v10
	v_add_co_ci_u32_e64 v11, null, v29, v11, vcc_lo
	global_load_ushort v10, v[10:11], off
	s_waitcnt vmcnt(0)
	v_and_b32_e32 v10, 0x7fff, v10
	v_cmp_ne_u16_e32 vcc_lo, 0, v10
	v_cndmask_b32_e64 v10, 0, 1, vcc_lo
	v_add_co_u32 v2, vcc_lo, v2, v10
	v_add_co_ci_u32_e64 v3, null, 0, v3, vcc_lo
	v_mov_b32_e32 v17, v9
	v_mov_b32_e32 v16, v8
	;; [unrolled: 1-line block ×8, first 2 shown]
.LBB12_38:
	v_mov_b32_e32 v2, v10
	v_mov_b32_e32 v3, v11
	;; [unrolled: 1-line block ×8, first 2 shown]
.LBB12_39:
	s_or_b32 exec_lo, exec_lo, s2
	v_or_b32_e32 v30, 1, v0
	s_mov_b32 s2, exec_lo
	v_cmpx_gt_i32_e64 s10, v30
	s_cbranch_execz .LBB12_45
; %bb.40:
	s_andn2_b32 vcc_lo, exec_lo, s1
	s_cbranch_vccnz .LBB12_42
; %bb.41:
	global_load_ushort v10, v[20:21], off offset:2
	s_waitcnt vmcnt(0)
	v_and_b32_e32 v10, 0x7fff, v10
	v_cmp_ne_u16_e32 vcc_lo, 0, v10
	v_cndmask_b32_e64 v10, 0, 1, vcc_lo
	v_add_co_u32 v31, vcc_lo, v2, v10
	v_add_co_ci_u32_e64 v32, null, 0, v3, vcc_lo
	v_mov_b32_e32 v17, v9
	v_mov_b32_e32 v11, v3
	v_mov_b32_e32 v10, v2
	v_mov_b32_e32 v16, v8
	v_mov_b32_e32 v15, v7
	v_mov_b32_e32 v14, v6
	v_mov_b32_e32 v13, v5
	v_mov_b32_e32 v12, v4
	v_mov_b32_e32 v10, v31
	v_mov_b32_e32 v11, v32
	s_cbranch_execz .LBB12_43
	s_branch .LBB12_44
.LBB12_42:
                                        ; implicit-def: $vgpr10_vgpr11_vgpr12_vgpr13_vgpr14_vgpr15_vgpr16_vgpr17
.LBB12_43:
	v_mad_u64_u32 v[10:11], null, s14, v30, 0
	v_mad_u64_u32 v[11:12], null, s15, v30, v[11:12]
	v_lshlrev_b64 v[10:11], 1, v[10:11]
	v_add_co_u32 v10, vcc_lo, v28, v10
	v_add_co_ci_u32_e64 v11, null, v29, v11, vcc_lo
	global_load_ushort v10, v[10:11], off
	s_waitcnt vmcnt(0)
	v_and_b32_e32 v10, 0x7fff, v10
	v_cmp_ne_u16_e32 vcc_lo, 0, v10
	v_cndmask_b32_e64 v10, 0, 1, vcc_lo
	v_add_co_u32 v2, vcc_lo, v2, v10
	v_add_co_ci_u32_e64 v3, null, 0, v3, vcc_lo
	v_mov_b32_e32 v17, v9
	v_mov_b32_e32 v16, v8
	v_mov_b32_e32 v15, v7
	v_mov_b32_e32 v14, v6
	v_mov_b32_e32 v13, v5
	v_mov_b32_e32 v12, v4
	v_mov_b32_e32 v11, v3
	v_mov_b32_e32 v10, v2
.LBB12_44:
	v_mov_b32_e32 v2, v10
	v_mov_b32_e32 v3, v11
	v_mov_b32_e32 v4, v12
	v_mov_b32_e32 v5, v13
	v_mov_b32_e32 v6, v14
	v_mov_b32_e32 v7, v15
	v_mov_b32_e32 v8, v16
	v_mov_b32_e32 v9, v17
.LBB12_45:
	s_or_b32 exec_lo, exec_lo, s2
	v_or_b32_e32 v30, 2, v0
	s_mov_b32 s2, exec_lo
	v_cmpx_gt_i32_e64 s10, v30
	s_cbranch_execz .LBB12_51
; %bb.46:
	s_andn2_b32 vcc_lo, exec_lo, s1
	s_cbranch_vccnz .LBB12_48
; %bb.47:
	global_load_ushort v10, v[20:21], off offset:4
	s_waitcnt vmcnt(0)
	v_and_b32_e32 v10, 0x7fff, v10
	v_cmp_ne_u16_e32 vcc_lo, 0, v10
	v_cndmask_b32_e64 v10, 0, 1, vcc_lo
	v_add_co_u32 v31, vcc_lo, v2, v10
	v_add_co_ci_u32_e64 v32, null, 0, v3, vcc_lo
	v_mov_b32_e32 v17, v9
	v_mov_b32_e32 v11, v3
	v_mov_b32_e32 v10, v2
	v_mov_b32_e32 v16, v8
	v_mov_b32_e32 v15, v7
	v_mov_b32_e32 v14, v6
	v_mov_b32_e32 v13, v5
	v_mov_b32_e32 v12, v4
	v_mov_b32_e32 v10, v31
	v_mov_b32_e32 v11, v32
	s_cbranch_execz .LBB12_49
	s_branch .LBB12_50
.LBB12_48:
                                        ; implicit-def: $vgpr10_vgpr11_vgpr12_vgpr13_vgpr14_vgpr15_vgpr16_vgpr17
.LBB12_49:
	v_mad_u64_u32 v[10:11], null, s14, v30, 0
	v_mad_u64_u32 v[11:12], null, s15, v30, v[11:12]
	v_lshlrev_b64 v[10:11], 1, v[10:11]
	v_add_co_u32 v10, vcc_lo, v28, v10
	v_add_co_ci_u32_e64 v11, null, v29, v11, vcc_lo
	global_load_ushort v10, v[10:11], off
	s_waitcnt vmcnt(0)
	v_and_b32_e32 v10, 0x7fff, v10
	v_cmp_ne_u16_e32 vcc_lo, 0, v10
	v_cndmask_b32_e64 v10, 0, 1, vcc_lo
	v_add_co_u32 v2, vcc_lo, v2, v10
	v_add_co_ci_u32_e64 v3, null, 0, v3, vcc_lo
	v_mov_b32_e32 v17, v9
	v_mov_b32_e32 v16, v8
	v_mov_b32_e32 v15, v7
	v_mov_b32_e32 v14, v6
	v_mov_b32_e32 v13, v5
	v_mov_b32_e32 v12, v4
	v_mov_b32_e32 v11, v3
	v_mov_b32_e32 v10, v2
.LBB12_50:
	v_mov_b32_e32 v2, v10
	v_mov_b32_e32 v3, v11
	v_mov_b32_e32 v4, v12
	v_mov_b32_e32 v5, v13
	v_mov_b32_e32 v6, v14
	v_mov_b32_e32 v7, v15
	v_mov_b32_e32 v8, v16
	v_mov_b32_e32 v9, v17
.LBB12_51:
	;; [unrolled: 61-line block ×3, first 2 shown]
	s_or_b32 exec_lo, exec_lo, s2
	s_or_b32 exec_lo, exec_lo, s0
	s_mov_b32 s0, exec_lo
	v_cmpx_gt_i32_e64 s9, v26
	s_cbranch_execz .LBB12_31
.LBB12_58:
	v_ashrrev_i32_e32 v12, 31, v26
	v_mul_lo_u32 v13, s15, v26
	v_mad_u64_u32 v[10:11], null, s14, v26, 0
	s_mov_b32 s2, exec_lo
	v_mul_lo_u32 v12, s14, v12
	v_add3_u32 v11, v11, v12, v13
	v_lshlrev_b64 v[12:13], 1, v[18:19]
	v_lshlrev_b64 v[10:11], 1, v[10:11]
	v_add_co_u32 v26, vcc_lo, s12, v12
	v_add_co_ci_u32_e64 v28, null, s13, v13, vcc_lo
	v_add_co_u32 v20, vcc_lo, v1, v10
	v_add_co_ci_u32_e64 v21, null, v27, v11, vcc_lo
	v_cmpx_gt_i32_e64 s10, v0
	s_cbranch_execz .LBB12_64
; %bb.59:
	s_andn2_b32 vcc_lo, exec_lo, s1
	s_cbranch_vccnz .LBB12_61
; %bb.60:
	global_load_ushort v10, v[20:21], off
	s_waitcnt vmcnt(0)
	v_and_b32_e32 v10, 0x7fff, v10
	v_cmp_ne_u16_e32 vcc_lo, 0, v10
	v_cndmask_b32_e64 v10, 0, 1, vcc_lo
	v_add_co_u32 v29, vcc_lo, v4, v10
	v_add_co_ci_u32_e64 v30, null, 0, v5, vcc_lo
	v_mov_b32_e32 v17, v9
	v_mov_b32_e32 v13, v5
	;; [unrolled: 1-line block ×10, first 2 shown]
	s_cbranch_execz .LBB12_62
	s_branch .LBB12_63
.LBB12_61:
                                        ; implicit-def: $vgpr10_vgpr11_vgpr12_vgpr13_vgpr14_vgpr15_vgpr16_vgpr17
.LBB12_62:
	v_mad_u64_u32 v[10:11], null, s14, v0, 0
	v_mad_u64_u32 v[11:12], null, s15, v0, v[11:12]
	v_lshlrev_b64 v[10:11], 1, v[10:11]
	v_add_co_u32 v10, vcc_lo, v26, v10
	v_add_co_ci_u32_e64 v11, null, v28, v11, vcc_lo
	global_load_ushort v10, v[10:11], off offset:128
	s_waitcnt vmcnt(0)
	v_and_b32_e32 v10, 0x7fff, v10
	v_cmp_ne_u16_e32 vcc_lo, 0, v10
	v_cndmask_b32_e64 v10, 0, 1, vcc_lo
	v_add_co_u32 v4, vcc_lo, v4, v10
	v_add_co_ci_u32_e64 v5, null, 0, v5, vcc_lo
	v_mov_b32_e32 v17, v9
	v_mov_b32_e32 v16, v8
	;; [unrolled: 1-line block ×8, first 2 shown]
.LBB12_63:
	v_mov_b32_e32 v2, v10
	v_mov_b32_e32 v3, v11
	;; [unrolled: 1-line block ×8, first 2 shown]
.LBB12_64:
	s_or_b32 exec_lo, exec_lo, s2
	v_or_b32_e32 v29, 1, v0
	s_mov_b32 s2, exec_lo
	v_cmpx_gt_i32_e64 s10, v29
	s_cbranch_execz .LBB12_70
; %bb.65:
	s_andn2_b32 vcc_lo, exec_lo, s1
	s_cbranch_vccnz .LBB12_67
; %bb.66:
	global_load_ushort v10, v[20:21], off offset:2
	s_waitcnt vmcnt(0)
	v_and_b32_e32 v10, 0x7fff, v10
	v_cmp_ne_u16_e32 vcc_lo, 0, v10
	v_cndmask_b32_e64 v10, 0, 1, vcc_lo
	v_add_co_u32 v30, vcc_lo, v4, v10
	v_add_co_ci_u32_e64 v31, null, 0, v5, vcc_lo
	v_mov_b32_e32 v17, v9
	v_mov_b32_e32 v13, v5
	v_mov_b32_e32 v12, v4
	v_mov_b32_e32 v16, v8
	v_mov_b32_e32 v15, v7
	v_mov_b32_e32 v14, v6
	v_mov_b32_e32 v11, v3
	v_mov_b32_e32 v10, v2
	v_mov_b32_e32 v12, v30
	v_mov_b32_e32 v13, v31
	s_cbranch_execz .LBB12_68
	s_branch .LBB12_69
.LBB12_67:
                                        ; implicit-def: $vgpr10_vgpr11_vgpr12_vgpr13_vgpr14_vgpr15_vgpr16_vgpr17
.LBB12_68:
	v_mad_u64_u32 v[10:11], null, s14, v29, 0
	v_mad_u64_u32 v[11:12], null, s15, v29, v[11:12]
	v_lshlrev_b64 v[10:11], 1, v[10:11]
	v_add_co_u32 v10, vcc_lo, v26, v10
	v_add_co_ci_u32_e64 v11, null, v28, v11, vcc_lo
	global_load_ushort v10, v[10:11], off offset:128
	s_waitcnt vmcnt(0)
	v_and_b32_e32 v10, 0x7fff, v10
	v_cmp_ne_u16_e32 vcc_lo, 0, v10
	v_cndmask_b32_e64 v10, 0, 1, vcc_lo
	v_add_co_u32 v4, vcc_lo, v4, v10
	v_add_co_ci_u32_e64 v5, null, 0, v5, vcc_lo
	v_mov_b32_e32 v17, v9
	v_mov_b32_e32 v16, v8
	v_mov_b32_e32 v15, v7
	v_mov_b32_e32 v14, v6
	v_mov_b32_e32 v13, v5
	v_mov_b32_e32 v12, v4
	v_mov_b32_e32 v11, v3
	v_mov_b32_e32 v10, v2
.LBB12_69:
	v_mov_b32_e32 v2, v10
	v_mov_b32_e32 v3, v11
	v_mov_b32_e32 v4, v12
	v_mov_b32_e32 v5, v13
	v_mov_b32_e32 v6, v14
	v_mov_b32_e32 v7, v15
	v_mov_b32_e32 v8, v16
	v_mov_b32_e32 v9, v17
.LBB12_70:
	s_or_b32 exec_lo, exec_lo, s2
	v_or_b32_e32 v29, 2, v0
	s_mov_b32 s2, exec_lo
	v_cmpx_gt_i32_e64 s10, v29
	s_cbranch_execz .LBB12_76
; %bb.71:
	s_andn2_b32 vcc_lo, exec_lo, s1
	s_cbranch_vccnz .LBB12_73
; %bb.72:
	global_load_ushort v10, v[20:21], off offset:4
	s_waitcnt vmcnt(0)
	v_and_b32_e32 v10, 0x7fff, v10
	v_cmp_ne_u16_e32 vcc_lo, 0, v10
	v_cndmask_b32_e64 v10, 0, 1, vcc_lo
	v_add_co_u32 v30, vcc_lo, v4, v10
	v_add_co_ci_u32_e64 v31, null, 0, v5, vcc_lo
	v_mov_b32_e32 v17, v9
	v_mov_b32_e32 v13, v5
	v_mov_b32_e32 v12, v4
	v_mov_b32_e32 v16, v8
	v_mov_b32_e32 v15, v7
	v_mov_b32_e32 v14, v6
	v_mov_b32_e32 v11, v3
	v_mov_b32_e32 v10, v2
	v_mov_b32_e32 v12, v30
	v_mov_b32_e32 v13, v31
	s_cbranch_execz .LBB12_74
	s_branch .LBB12_75
.LBB12_73:
                                        ; implicit-def: $vgpr10_vgpr11_vgpr12_vgpr13_vgpr14_vgpr15_vgpr16_vgpr17
.LBB12_74:
	v_mad_u64_u32 v[10:11], null, s14, v29, 0
	v_mad_u64_u32 v[11:12], null, s15, v29, v[11:12]
	v_lshlrev_b64 v[10:11], 1, v[10:11]
	v_add_co_u32 v10, vcc_lo, v26, v10
	v_add_co_ci_u32_e64 v11, null, v28, v11, vcc_lo
	global_load_ushort v10, v[10:11], off offset:128
	s_waitcnt vmcnt(0)
	v_and_b32_e32 v10, 0x7fff, v10
	v_cmp_ne_u16_e32 vcc_lo, 0, v10
	v_cndmask_b32_e64 v10, 0, 1, vcc_lo
	v_add_co_u32 v4, vcc_lo, v4, v10
	v_add_co_ci_u32_e64 v5, null, 0, v5, vcc_lo
	v_mov_b32_e32 v17, v9
	v_mov_b32_e32 v16, v8
	v_mov_b32_e32 v15, v7
	v_mov_b32_e32 v14, v6
	v_mov_b32_e32 v13, v5
	v_mov_b32_e32 v12, v4
	v_mov_b32_e32 v11, v3
	v_mov_b32_e32 v10, v2
.LBB12_75:
	v_mov_b32_e32 v2, v10
	v_mov_b32_e32 v3, v11
	v_mov_b32_e32 v4, v12
	v_mov_b32_e32 v5, v13
	v_mov_b32_e32 v6, v14
	v_mov_b32_e32 v7, v15
	v_mov_b32_e32 v8, v16
	v_mov_b32_e32 v9, v17
.LBB12_76:
	;; [unrolled: 61-line block ×3, first 2 shown]
	s_or_b32 exec_lo, exec_lo, s2
	s_or_b32 exec_lo, exec_lo, s0
	s_mov_b32 s0, exec_lo
	v_cmpx_gt_i32_e64 s9, v25
	s_cbranch_execz .LBB12_32
.LBB12_83:
	v_ashrrev_i32_e32 v12, 31, v25
	v_mul_lo_u32 v13, s15, v25
	v_mad_u64_u32 v[10:11], null, s14, v25, 0
	s_mov_b32 s2, exec_lo
	v_mul_lo_u32 v12, s14, v12
	v_add3_u32 v11, v11, v12, v13
	v_lshlrev_b64 v[12:13], 1, v[18:19]
	v_lshlrev_b64 v[10:11], 1, v[10:11]
	v_add_co_u32 v25, vcc_lo, s12, v12
	v_add_co_ci_u32_e64 v26, null, s13, v13, vcc_lo
	v_add_co_u32 v20, vcc_lo, v1, v10
	v_add_co_ci_u32_e64 v21, null, v27, v11, vcc_lo
	v_cmpx_gt_i32_e64 s10, v0
	s_cbranch_execz .LBB12_89
; %bb.84:
	s_andn2_b32 vcc_lo, exec_lo, s1
	s_cbranch_vccnz .LBB12_86
; %bb.85:
	global_load_ushort v10, v[20:21], off
	s_waitcnt vmcnt(0)
	v_and_b32_e32 v10, 0x7fff, v10
	v_cmp_ne_u16_e32 vcc_lo, 0, v10
	v_cndmask_b32_e64 v10, 0, 1, vcc_lo
	v_add_co_u32 v28, vcc_lo, v6, v10
	v_add_co_ci_u32_e64 v29, null, 0, v7, vcc_lo
	v_mov_b32_e32 v17, v9
	v_mov_b32_e32 v15, v7
	v_mov_b32_e32 v14, v6
	v_mov_b32_e32 v16, v8
	v_mov_b32_e32 v13, v5
	v_mov_b32_e32 v12, v4
	v_mov_b32_e32 v11, v3
	v_mov_b32_e32 v10, v2
	v_mov_b32_e32 v14, v28
	v_mov_b32_e32 v15, v29
	s_cbranch_execz .LBB12_87
	s_branch .LBB12_88
.LBB12_86:
                                        ; implicit-def: $vgpr10_vgpr11_vgpr12_vgpr13_vgpr14_vgpr15_vgpr16_vgpr17
.LBB12_87:
	v_mad_u64_u32 v[10:11], null, s14, v0, 0
	v_mad_u64_u32 v[11:12], null, s15, v0, v[11:12]
	v_lshlrev_b64 v[10:11], 1, v[10:11]
	v_add_co_u32 v10, vcc_lo, v25, v10
	v_add_co_ci_u32_e64 v11, null, v26, v11, vcc_lo
	global_load_ushort v10, v[10:11], off offset:256
	s_waitcnt vmcnt(0)
	v_and_b32_e32 v10, 0x7fff, v10
	v_cmp_ne_u16_e32 vcc_lo, 0, v10
	v_cndmask_b32_e64 v10, 0, 1, vcc_lo
	v_add_co_u32 v6, vcc_lo, v6, v10
	v_add_co_ci_u32_e64 v7, null, 0, v7, vcc_lo
	v_mov_b32_e32 v17, v9
	v_mov_b32_e32 v16, v8
	;; [unrolled: 1-line block ×8, first 2 shown]
.LBB12_88:
	v_mov_b32_e32 v2, v10
	v_mov_b32_e32 v3, v11
	;; [unrolled: 1-line block ×8, first 2 shown]
.LBB12_89:
	s_or_b32 exec_lo, exec_lo, s2
	v_or_b32_e32 v28, 1, v0
	s_mov_b32 s2, exec_lo
	v_cmpx_gt_i32_e64 s10, v28
	s_cbranch_execz .LBB12_95
; %bb.90:
	s_andn2_b32 vcc_lo, exec_lo, s1
	s_cbranch_vccnz .LBB12_92
; %bb.91:
	global_load_ushort v10, v[20:21], off offset:2
	s_waitcnt vmcnt(0)
	v_and_b32_e32 v10, 0x7fff, v10
	v_cmp_ne_u16_e32 vcc_lo, 0, v10
	v_cndmask_b32_e64 v10, 0, 1, vcc_lo
	v_add_co_u32 v29, vcc_lo, v6, v10
	v_add_co_ci_u32_e64 v30, null, 0, v7, vcc_lo
	v_mov_b32_e32 v17, v9
	v_mov_b32_e32 v15, v7
	v_mov_b32_e32 v14, v6
	v_mov_b32_e32 v16, v8
	v_mov_b32_e32 v13, v5
	v_mov_b32_e32 v12, v4
	v_mov_b32_e32 v11, v3
	v_mov_b32_e32 v10, v2
	v_mov_b32_e32 v14, v29
	v_mov_b32_e32 v15, v30
	s_cbranch_execz .LBB12_93
	s_branch .LBB12_94
.LBB12_92:
                                        ; implicit-def: $vgpr10_vgpr11_vgpr12_vgpr13_vgpr14_vgpr15_vgpr16_vgpr17
.LBB12_93:
	v_mad_u64_u32 v[10:11], null, s14, v28, 0
	v_mad_u64_u32 v[11:12], null, s15, v28, v[11:12]
	v_lshlrev_b64 v[10:11], 1, v[10:11]
	v_add_co_u32 v10, vcc_lo, v25, v10
	v_add_co_ci_u32_e64 v11, null, v26, v11, vcc_lo
	global_load_ushort v10, v[10:11], off offset:256
	s_waitcnt vmcnt(0)
	v_and_b32_e32 v10, 0x7fff, v10
	v_cmp_ne_u16_e32 vcc_lo, 0, v10
	v_cndmask_b32_e64 v10, 0, 1, vcc_lo
	v_add_co_u32 v6, vcc_lo, v6, v10
	v_add_co_ci_u32_e64 v7, null, 0, v7, vcc_lo
	v_mov_b32_e32 v17, v9
	v_mov_b32_e32 v16, v8
	v_mov_b32_e32 v14, v6
	v_mov_b32_e32 v15, v7
	v_mov_b32_e32 v13, v5
	v_mov_b32_e32 v12, v4
	v_mov_b32_e32 v11, v3
	v_mov_b32_e32 v10, v2
.LBB12_94:
	v_mov_b32_e32 v2, v10
	v_mov_b32_e32 v3, v11
	v_mov_b32_e32 v4, v12
	v_mov_b32_e32 v5, v13
	v_mov_b32_e32 v6, v14
	v_mov_b32_e32 v7, v15
	v_mov_b32_e32 v8, v16
	v_mov_b32_e32 v9, v17
.LBB12_95:
	s_or_b32 exec_lo, exec_lo, s2
	v_or_b32_e32 v28, 2, v0
	s_mov_b32 s2, exec_lo
	v_cmpx_gt_i32_e64 s10, v28
	s_cbranch_execz .LBB12_101
; %bb.96:
	s_andn2_b32 vcc_lo, exec_lo, s1
	s_cbranch_vccnz .LBB12_98
; %bb.97:
	global_load_ushort v10, v[20:21], off offset:4
	s_waitcnt vmcnt(0)
	v_and_b32_e32 v10, 0x7fff, v10
	v_cmp_ne_u16_e32 vcc_lo, 0, v10
	v_cndmask_b32_e64 v10, 0, 1, vcc_lo
	v_add_co_u32 v29, vcc_lo, v6, v10
	v_add_co_ci_u32_e64 v30, null, 0, v7, vcc_lo
	v_mov_b32_e32 v17, v9
	v_mov_b32_e32 v15, v7
	v_mov_b32_e32 v14, v6
	v_mov_b32_e32 v16, v8
	v_mov_b32_e32 v13, v5
	v_mov_b32_e32 v12, v4
	v_mov_b32_e32 v11, v3
	v_mov_b32_e32 v10, v2
	v_mov_b32_e32 v14, v29
	v_mov_b32_e32 v15, v30
	s_cbranch_execz .LBB12_99
	s_branch .LBB12_100
.LBB12_98:
                                        ; implicit-def: $vgpr10_vgpr11_vgpr12_vgpr13_vgpr14_vgpr15_vgpr16_vgpr17
.LBB12_99:
	v_mad_u64_u32 v[10:11], null, s14, v28, 0
	v_mad_u64_u32 v[11:12], null, s15, v28, v[11:12]
	v_lshlrev_b64 v[10:11], 1, v[10:11]
	v_add_co_u32 v10, vcc_lo, v25, v10
	v_add_co_ci_u32_e64 v11, null, v26, v11, vcc_lo
	global_load_ushort v10, v[10:11], off offset:256
	s_waitcnt vmcnt(0)
	v_and_b32_e32 v10, 0x7fff, v10
	v_cmp_ne_u16_e32 vcc_lo, 0, v10
	v_cndmask_b32_e64 v10, 0, 1, vcc_lo
	v_add_co_u32 v6, vcc_lo, v6, v10
	v_add_co_ci_u32_e64 v7, null, 0, v7, vcc_lo
	v_mov_b32_e32 v17, v9
	v_mov_b32_e32 v16, v8
	v_mov_b32_e32 v14, v6
	v_mov_b32_e32 v15, v7
	v_mov_b32_e32 v13, v5
	v_mov_b32_e32 v12, v4
	v_mov_b32_e32 v11, v3
	v_mov_b32_e32 v10, v2
.LBB12_100:
	v_mov_b32_e32 v2, v10
	v_mov_b32_e32 v3, v11
	v_mov_b32_e32 v4, v12
	v_mov_b32_e32 v5, v13
	v_mov_b32_e32 v6, v14
	v_mov_b32_e32 v7, v15
	v_mov_b32_e32 v8, v16
	v_mov_b32_e32 v9, v17
.LBB12_101:
	;; [unrolled: 61-line block ×3, first 2 shown]
	s_or_b32 exec_lo, exec_lo, s2
	s_or_b32 exec_lo, exec_lo, s0
	s_mov_b32 s2, exec_lo
	v_cmpx_gt_i32_e64 s9, v24
	s_cbranch_execz .LBB12_133
.LBB12_108:
	v_ashrrev_i32_e32 v12, 31, v24
	v_mul_lo_u32 v13, s15, v24
	v_mad_u64_u32 v[10:11], null, s14, v24, 0
	v_mul_lo_u32 v12, s14, v12
	v_add3_u32 v11, v11, v12, v13
	v_lshlrev_b64 v[12:13], 1, v[18:19]
	v_lshlrev_b64 v[10:11], 1, v[10:11]
	v_add_co_u32 v20, s0, s12, v12
	v_add_co_ci_u32_e64 v21, null, s13, v13, s0
	v_add_co_u32 v18, s0, v1, v10
	v_add_co_ci_u32_e64 v19, null, v27, v11, s0
	v_cndmask_b32_e64 v1, 0, 1, s1
	s_mov_b32 s0, exec_lo
	v_cmpx_gt_i32_e64 s10, v0
	s_cbranch_execz .LBB12_114
; %bb.109:
	s_andn2_b32 vcc_lo, exec_lo, s1
	s_cbranch_vccnz .LBB12_111
; %bb.110:
	global_load_ushort v10, v[18:19], off
	s_waitcnt vmcnt(0)
	v_and_b32_e32 v10, 0x7fff, v10
	v_cmp_ne_u16_e32 vcc_lo, 0, v10
	v_cndmask_b32_e64 v10, 0, 1, vcc_lo
	v_add_co_u32 v24, vcc_lo, v8, v10
	v_add_co_ci_u32_e64 v25, null, 0, v9, vcc_lo
	v_mov_b32_e32 v17, v9
	v_mov_b32_e32 v16, v8
	;; [unrolled: 1-line block ×10, first 2 shown]
	s_cbranch_execz .LBB12_112
	s_branch .LBB12_113
.LBB12_111:
                                        ; implicit-def: $vgpr10_vgpr11_vgpr12_vgpr13_vgpr14_vgpr15_vgpr16_vgpr17
.LBB12_112:
	v_mad_u64_u32 v[10:11], null, s14, v0, 0
	v_mad_u64_u32 v[11:12], null, s15, v0, v[11:12]
	v_lshlrev_b64 v[10:11], 1, v[10:11]
	v_add_co_u32 v10, vcc_lo, v20, v10
	v_add_co_ci_u32_e64 v11, null, v21, v11, vcc_lo
	global_load_ushort v10, v[10:11], off offset:384
	s_waitcnt vmcnt(0)
	v_and_b32_e32 v10, 0x7fff, v10
	v_cmp_ne_u16_e32 vcc_lo, 0, v10
	v_cndmask_b32_e64 v10, 0, 1, vcc_lo
	v_add_co_u32 v8, vcc_lo, v8, v10
	v_add_co_ci_u32_e64 v9, null, 0, v9, vcc_lo
	v_mov_b32_e32 v17, v9
	v_mov_b32_e32 v16, v8
	;; [unrolled: 1-line block ×8, first 2 shown]
.LBB12_113:
	v_mov_b32_e32 v2, v10
	v_mov_b32_e32 v3, v11
	;; [unrolled: 1-line block ×8, first 2 shown]
.LBB12_114:
	s_or_b32 exec_lo, exec_lo, s0
	v_or_b32_e32 v24, 1, v0
	s_mov_b32 s0, exec_lo
	v_cmpx_gt_i32_e64 s10, v24
	s_cbranch_execz .LBB12_120
; %bb.115:
	v_cmp_ne_u32_e32 vcc_lo, 1, v1
	s_cbranch_vccnz .LBB12_117
; %bb.116:
	global_load_ushort v10, v[18:19], off offset:2
	s_waitcnt vmcnt(0)
	v_and_b32_e32 v10, 0x7fff, v10
	v_cmp_ne_u16_e32 vcc_lo, 0, v10
	v_cndmask_b32_e64 v10, 0, 1, vcc_lo
	v_add_co_u32 v25, vcc_lo, v8, v10
	v_add_co_ci_u32_e64 v26, null, 0, v9, vcc_lo
	v_mov_b32_e32 v17, v9
	v_mov_b32_e32 v16, v8
	;; [unrolled: 1-line block ×10, first 2 shown]
	s_cbranch_execz .LBB12_118
	s_branch .LBB12_119
.LBB12_117:
                                        ; implicit-def: $vgpr10_vgpr11_vgpr12_vgpr13_vgpr14_vgpr15_vgpr16_vgpr17
.LBB12_118:
	v_mad_u64_u32 v[10:11], null, s14, v24, 0
	v_mad_u64_u32 v[11:12], null, s15, v24, v[11:12]
	v_lshlrev_b64 v[10:11], 1, v[10:11]
	v_add_co_u32 v10, vcc_lo, v20, v10
	v_add_co_ci_u32_e64 v11, null, v21, v11, vcc_lo
	global_load_ushort v10, v[10:11], off offset:384
	s_waitcnt vmcnt(0)
	v_and_b32_e32 v10, 0x7fff, v10
	v_cmp_ne_u16_e32 vcc_lo, 0, v10
	v_cndmask_b32_e64 v10, 0, 1, vcc_lo
	v_add_co_u32 v8, vcc_lo, v8, v10
	v_add_co_ci_u32_e64 v9, null, 0, v9, vcc_lo
	v_mov_b32_e32 v17, v9
	v_mov_b32_e32 v16, v8
	;; [unrolled: 1-line block ×8, first 2 shown]
.LBB12_119:
	v_mov_b32_e32 v2, v10
	v_mov_b32_e32 v3, v11
	;; [unrolled: 1-line block ×8, first 2 shown]
.LBB12_120:
	s_or_b32 exec_lo, exec_lo, s0
	v_or_b32_e32 v24, 2, v0
	s_mov_b32 s0, exec_lo
	v_cmpx_gt_i32_e64 s10, v24
	s_cbranch_execz .LBB12_126
; %bb.121:
	v_cmp_ne_u32_e32 vcc_lo, 1, v1
	s_cbranch_vccnz .LBB12_123
; %bb.122:
	global_load_ushort v10, v[18:19], off offset:4
	s_waitcnt vmcnt(0)
	v_and_b32_e32 v10, 0x7fff, v10
	v_cmp_ne_u16_e32 vcc_lo, 0, v10
	v_cndmask_b32_e64 v10, 0, 1, vcc_lo
	v_add_co_u32 v25, vcc_lo, v8, v10
	v_add_co_ci_u32_e64 v26, null, 0, v9, vcc_lo
	v_mov_b32_e32 v17, v9
	v_mov_b32_e32 v16, v8
	;; [unrolled: 1-line block ×10, first 2 shown]
	s_cbranch_execz .LBB12_124
	s_branch .LBB12_125
.LBB12_123:
                                        ; implicit-def: $vgpr10_vgpr11_vgpr12_vgpr13_vgpr14_vgpr15_vgpr16_vgpr17
.LBB12_124:
	v_mad_u64_u32 v[10:11], null, s14, v24, 0
	v_mad_u64_u32 v[11:12], null, s15, v24, v[11:12]
	v_lshlrev_b64 v[10:11], 1, v[10:11]
	v_add_co_u32 v10, vcc_lo, v20, v10
	v_add_co_ci_u32_e64 v11, null, v21, v11, vcc_lo
	global_load_ushort v10, v[10:11], off offset:384
	s_waitcnt vmcnt(0)
	v_and_b32_e32 v10, 0x7fff, v10
	v_cmp_ne_u16_e32 vcc_lo, 0, v10
	v_cndmask_b32_e64 v10, 0, 1, vcc_lo
	v_add_co_u32 v8, vcc_lo, v8, v10
	v_add_co_ci_u32_e64 v9, null, 0, v9, vcc_lo
	v_mov_b32_e32 v17, v9
	v_mov_b32_e32 v16, v8
	;; [unrolled: 1-line block ×8, first 2 shown]
.LBB12_125:
	v_mov_b32_e32 v2, v10
	v_mov_b32_e32 v3, v11
	;; [unrolled: 1-line block ×8, first 2 shown]
.LBB12_126:
	s_or_b32 exec_lo, exec_lo, s0
	v_or_b32_e32 v0, 3, v0
	s_mov_b32 s0, exec_lo
	v_cmpx_gt_i32_e64 s10, v0
	s_cbranch_execz .LBB12_132
; %bb.127:
	v_cmp_ne_u32_e32 vcc_lo, 1, v1
	s_cbranch_vccnz .LBB12_129
; %bb.128:
	global_load_ushort v1, v[18:19], off offset:6
	v_mov_b32_e32 v17, v9
	v_mov_b32_e32 v16, v8
	v_mov_b32_e32 v15, v7
	v_mov_b32_e32 v14, v6
	v_mov_b32_e32 v13, v5
	v_mov_b32_e32 v12, v4
	v_mov_b32_e32 v11, v3
	v_mov_b32_e32 v10, v2
	s_waitcnt vmcnt(0)
	v_and_b32_e32 v1, 0x7fff, v1
	v_cmp_ne_u16_e32 vcc_lo, 0, v1
	v_cndmask_b32_e64 v1, 0, 1, vcc_lo
	v_add_co_u32 v1, vcc_lo, v8, v1
	v_add_co_ci_u32_e64 v18, null, 0, v9, vcc_lo
	v_mov_b32_e32 v16, v1
	v_mov_b32_e32 v17, v18
	s_cbranch_execz .LBB12_130
	s_branch .LBB12_131
.LBB12_129:
                                        ; implicit-def: $vgpr10_vgpr11_vgpr12_vgpr13_vgpr14_vgpr15_vgpr16_vgpr17
.LBB12_130:
	v_mad_u64_u32 v[10:11], null, s14, v0, 0
	v_mov_b32_e32 v1, v11
	v_mad_u64_u32 v[0:1], null, s15, v0, v[1:2]
	v_mov_b32_e32 v11, v0
	v_lshlrev_b64 v[0:1], 1, v[10:11]
	v_add_co_u32 v0, vcc_lo, v20, v0
	v_add_co_ci_u32_e64 v1, null, v21, v1, vcc_lo
	global_load_ushort v0, v[0:1], off offset:384
	s_waitcnt vmcnt(0)
	v_and_b32_e32 v0, 0x7fff, v0
	v_cmp_ne_u16_e32 vcc_lo, 0, v0
	v_cndmask_b32_e64 v0, 0, 1, vcc_lo
	v_add_co_u32 v8, vcc_lo, v8, v0
	v_add_co_ci_u32_e64 v9, null, 0, v9, vcc_lo
	v_mov_b32_e32 v17, v9
	v_mov_b32_e32 v16, v8
	;; [unrolled: 1-line block ×8, first 2 shown]
.LBB12_131:
	v_mov_b32_e32 v2, v10
	v_mov_b32_e32 v3, v11
	;; [unrolled: 1-line block ×8, first 2 shown]
.LBB12_132:
	s_or_b32 exec_lo, exec_lo, s0
.LBB12_133:
	s_or_b32 exec_lo, exec_lo, s2
.LBB12_134:
	v_lshlrev_b32_e32 v0, 5, v22
	v_lshlrev_b32_e32 v1, 3, v23
	s_mov_b32 s0, exec_lo
	v_and_or_b32 v0, 0xfffff800, v0, v1
	ds_write2st64_b64 v0, v[2:3], v[4:5] offset1:1
	ds_write2st64_b64 v0, v[6:7], v[8:9] offset0:2 offset1:3
	s_waitcnt lgkmcnt(0)
	s_barrier
	buffer_gl0_inv
	v_cmpx_gt_u32_e32 0x100, v22
	s_cbranch_execz .LBB12_137
; %bb.135:
	v_lshlrev_b32_e32 v12, 3, v22
	ds_read2st64_b64 v[0:3], v12 offset1:4
	ds_read2st64_b64 v[4:7], v12 offset0:8 offset1:12
	ds_read2st64_b64 v[8:11], v12 offset0:16 offset1:20
	s_waitcnt lgkmcnt(2)
	v_add_co_u32 v13, vcc_lo, v0, v2
	v_add_co_ci_u32_e64 v14, null, v1, v3, vcc_lo
	ds_read2st64_b64 v[0:3], v12 offset0:24 offset1:28
	s_waitcnt lgkmcnt(2)
	v_add_co_u32 v4, vcc_lo, v13, v4
	v_add_co_ci_u32_e64 v5, null, v14, v5, vcc_lo
	v_add_co_u32 v13, vcc_lo, v4, v6
	v_add_co_ci_u32_e64 v14, null, v5, v7, vcc_lo
	ds_read2st64_b64 v[4:7], v12 offset0:32 offset1:36
	s_waitcnt lgkmcnt(2)
	v_add_co_u32 v8, vcc_lo, v13, v8
	v_add_co_ci_u32_e64 v9, null, v14, v9, vcc_lo
	;; [unrolled: 6-line block ×5, first 2 shown]
	v_add_co_u32 v8, vcc_lo, v8, v10
	v_add_co_ci_u32_e64 v9, null, v9, v11, vcc_lo
	s_waitcnt lgkmcnt(1)
	v_add_co_u32 v0, vcc_lo, v8, v0
	v_add_co_ci_u32_e64 v1, null, v9, v1, vcc_lo
	v_add_co_u32 v0, vcc_lo, v0, v2
	v_add_co_ci_u32_e64 v1, null, v1, v3, vcc_lo
	v_add_nc_u32_e32 v2, s5, v22
	s_waitcnt lgkmcnt(0)
	v_add_co_u32 v0, vcc_lo, v0, v4
	v_add_co_ci_u32_e64 v1, null, v1, v5, vcc_lo
	v_add_co_u32 v0, vcc_lo, v0, v6
	v_add_co_ci_u32_e64 v1, null, v1, v7, vcc_lo
	v_cmp_gt_i32_e32 vcc_lo, s9, v2
	ds_write_b64 v12, v[0:1]
	s_and_b32 exec_lo, exec_lo, vcc_lo
	s_cbranch_execz .LBB12_137
; %bb.136:
	v_ashrrev_i32_e32 v3, 31, v2
	v_lshlrev_b64 v[2:3], 3, v[2:3]
	v_add_co_u32 v2, vcc_lo, s16, v2
	v_add_co_ci_u32_e64 v3, null, s17, v3, vcc_lo
	global_store_dwordx2 v[2:3], v[0:1], off
.LBB12_137:
	s_endpgm
	.section	.rodata,"a",@progbits
	.p2align	6, 0x0
	.amdhsa_kernel _ZN9rocsparseL14nnz_kernel_rowILi64ELi16Eli18rocsparse_bfloat16EEv16rocsparse_order_T2_S3_PKT3_lPT1_
		.amdhsa_group_segment_fixed_size 32768
		.amdhsa_private_segment_fixed_size 0
		.amdhsa_kernarg_size 296
		.amdhsa_user_sgpr_count 6
		.amdhsa_user_sgpr_private_segment_buffer 1
		.amdhsa_user_sgpr_dispatch_ptr 0
		.amdhsa_user_sgpr_queue_ptr 0
		.amdhsa_user_sgpr_kernarg_segment_ptr 1
		.amdhsa_user_sgpr_dispatch_id 0
		.amdhsa_user_sgpr_flat_scratch_init 0
		.amdhsa_user_sgpr_private_segment_size 0
		.amdhsa_wavefront_size32 1
		.amdhsa_uses_dynamic_stack 0
		.amdhsa_system_sgpr_private_segment_wavefront_offset 0
		.amdhsa_system_sgpr_workgroup_id_x 1
		.amdhsa_system_sgpr_workgroup_id_y 0
		.amdhsa_system_sgpr_workgroup_id_z 0
		.amdhsa_system_sgpr_workgroup_info 0
		.amdhsa_system_vgpr_workitem_id 1
		.amdhsa_next_free_vgpr 42
		.amdhsa_next_free_sgpr 22
		.amdhsa_reserve_vcc 1
		.amdhsa_reserve_flat_scratch 0
		.amdhsa_float_round_mode_32 0
		.amdhsa_float_round_mode_16_64 0
		.amdhsa_float_denorm_mode_32 3
		.amdhsa_float_denorm_mode_16_64 3
		.amdhsa_dx10_clamp 1
		.amdhsa_ieee_mode 1
		.amdhsa_fp16_overflow 0
		.amdhsa_workgroup_processor_mode 1
		.amdhsa_memory_ordered 1
		.amdhsa_forward_progress 1
		.amdhsa_shared_vgpr_count 0
		.amdhsa_exception_fp_ieee_invalid_op 0
		.amdhsa_exception_fp_denorm_src 0
		.amdhsa_exception_fp_ieee_div_zero 0
		.amdhsa_exception_fp_ieee_overflow 0
		.amdhsa_exception_fp_ieee_underflow 0
		.amdhsa_exception_fp_ieee_inexact 0
		.amdhsa_exception_int_div_zero 0
	.end_amdhsa_kernel
	.section	.text._ZN9rocsparseL14nnz_kernel_rowILi64ELi16Eli18rocsparse_bfloat16EEv16rocsparse_order_T2_S3_PKT3_lPT1_,"axG",@progbits,_ZN9rocsparseL14nnz_kernel_rowILi64ELi16Eli18rocsparse_bfloat16EEv16rocsparse_order_T2_S3_PKT3_lPT1_,comdat
.Lfunc_end12:
	.size	_ZN9rocsparseL14nnz_kernel_rowILi64ELi16Eli18rocsparse_bfloat16EEv16rocsparse_order_T2_S3_PKT3_lPT1_, .Lfunc_end12-_ZN9rocsparseL14nnz_kernel_rowILi64ELi16Eli18rocsparse_bfloat16EEv16rocsparse_order_T2_S3_PKT3_lPT1_
                                        ; -- End function
	.set _ZN9rocsparseL14nnz_kernel_rowILi64ELi16Eli18rocsparse_bfloat16EEv16rocsparse_order_T2_S3_PKT3_lPT1_.num_vgpr, 42
	.set _ZN9rocsparseL14nnz_kernel_rowILi64ELi16Eli18rocsparse_bfloat16EEv16rocsparse_order_T2_S3_PKT3_lPT1_.num_agpr, 0
	.set _ZN9rocsparseL14nnz_kernel_rowILi64ELi16Eli18rocsparse_bfloat16EEv16rocsparse_order_T2_S3_PKT3_lPT1_.numbered_sgpr, 22
	.set _ZN9rocsparseL14nnz_kernel_rowILi64ELi16Eli18rocsparse_bfloat16EEv16rocsparse_order_T2_S3_PKT3_lPT1_.num_named_barrier, 0
	.set _ZN9rocsparseL14nnz_kernel_rowILi64ELi16Eli18rocsparse_bfloat16EEv16rocsparse_order_T2_S3_PKT3_lPT1_.private_seg_size, 0
	.set _ZN9rocsparseL14nnz_kernel_rowILi64ELi16Eli18rocsparse_bfloat16EEv16rocsparse_order_T2_S3_PKT3_lPT1_.uses_vcc, 1
	.set _ZN9rocsparseL14nnz_kernel_rowILi64ELi16Eli18rocsparse_bfloat16EEv16rocsparse_order_T2_S3_PKT3_lPT1_.uses_flat_scratch, 0
	.set _ZN9rocsparseL14nnz_kernel_rowILi64ELi16Eli18rocsparse_bfloat16EEv16rocsparse_order_T2_S3_PKT3_lPT1_.has_dyn_sized_stack, 0
	.set _ZN9rocsparseL14nnz_kernel_rowILi64ELi16Eli18rocsparse_bfloat16EEv16rocsparse_order_T2_S3_PKT3_lPT1_.has_recursion, 0
	.set _ZN9rocsparseL14nnz_kernel_rowILi64ELi16Eli18rocsparse_bfloat16EEv16rocsparse_order_T2_S3_PKT3_lPT1_.has_indirect_call, 0
	.section	.AMDGPU.csdata,"",@progbits
; Kernel info:
; codeLenInByte = 8624
; TotalNumSgprs: 24
; NumVgprs: 42
; ScratchSize: 0
; MemoryBound: 0
; FloatMode: 240
; IeeeMode: 1
; LDSByteSize: 32768 bytes/workgroup (compile time only)
; SGPRBlocks: 0
; VGPRBlocks: 5
; NumSGPRsForWavesPerEU: 24
; NumVGPRsForWavesPerEU: 42
; Occupancy: 16
; WaveLimiterHint : 0
; COMPUTE_PGM_RSRC2:SCRATCH_EN: 0
; COMPUTE_PGM_RSRC2:USER_SGPR: 6
; COMPUTE_PGM_RSRC2:TRAP_HANDLER: 0
; COMPUTE_PGM_RSRC2:TGID_X_EN: 1
; COMPUTE_PGM_RSRC2:TGID_Y_EN: 0
; COMPUTE_PGM_RSRC2:TGID_Z_EN: 0
; COMPUTE_PGM_RSRC2:TIDIG_COMP_CNT: 1
	.section	.text._ZN9rocsparseL14nnz_kernel_colILi256Eli18rocsparse_bfloat16EEv16rocsparse_order_T1_S3_PKT2_lPT0_,"axG",@progbits,_ZN9rocsparseL14nnz_kernel_colILi256Eli18rocsparse_bfloat16EEv16rocsparse_order_T1_S3_PKT2_lPT0_,comdat
	.globl	_ZN9rocsparseL14nnz_kernel_colILi256Eli18rocsparse_bfloat16EEv16rocsparse_order_T1_S3_PKT2_lPT0_ ; -- Begin function _ZN9rocsparseL14nnz_kernel_colILi256Eli18rocsparse_bfloat16EEv16rocsparse_order_T1_S3_PKT2_lPT0_
	.p2align	8
	.type	_ZN9rocsparseL14nnz_kernel_colILi256Eli18rocsparse_bfloat16EEv16rocsparse_order_T1_S3_PKT2_lPT0_,@function
_ZN9rocsparseL14nnz_kernel_colILi256Eli18rocsparse_bfloat16EEv16rocsparse_order_T1_S3_PKT2_lPT0_: ; @_ZN9rocsparseL14nnz_kernel_colILi256Eli18rocsparse_bfloat16EEv16rocsparse_order_T1_S3_PKT2_lPT0_
; %bb.0:
	s_clause 0x1
	s_load_dwordx2 s[8:9], s[4:5], 0x0
	s_load_dwordx4 s[0:3], s[4:5], 0x10
	s_waitcnt lgkmcnt(0)
	s_ashr_i32 s7, s9, 31
	s_lshr_b32 s7, s7, 24
	s_add_i32 s7, s9, s7
	s_and_b32 s10, s7, 0xffffff00
	s_cmp_eq_u32 s8, 1
	s_cbranch_scc1 .LBB13_6
; %bb.1:
	v_mov_b32_e32 v1, 0
	v_mov_b32_e32 v2, 0
	s_cmpk_lt_i32 s9, 0x100
	s_cbranch_scc1 .LBB13_7
; %bb.2:
	v_mad_u64_u32 v[1:2], null, s2, v0, 0
	s_ashr_i32 s7, s6, 31
	s_lshl_b64 s[12:13], s[6:7], 1
	s_add_u32 s7, s0, s12
	s_addc_u32 s8, s1, s13
	v_mad_u64_u32 v[2:3], null, s3, v0, v[2:3]
	s_lshl_b64 s[12:13], s[2:3], 9
	v_lshlrev_b64 v[3:4], 1, v[1:2]
	v_mov_b32_e32 v1, 0
	v_mov_b32_e32 v2, 0
	v_add_co_u32 v3, vcc_lo, s7, v3
	v_add_co_ci_u32_e64 v4, null, s8, v4, vcc_lo
	s_mov_b32 s7, 0
	s_inst_prefetch 0x1
	s_branch .LBB13_4
	.p2align	6
.LBB13_3:                               ;   in Loop: Header=BB13_4 Depth=1
	s_or_b32 exec_lo, exec_lo, s8
	v_add_co_u32 v3, vcc_lo, v3, s12
	v_add_co_ci_u32_e64 v4, null, s13, v4, vcc_lo
	s_addk_i32 s7, 0x100
	s_cmp_ge_i32 s7, s10
	s_cbranch_scc1 .LBB13_7
.LBB13_4:                               ; =>This Inner Loop Header: Depth=1
	v_add_nc_u32_e32 v5, s7, v0
	s_mov_b32 s8, exec_lo
	v_cmpx_gt_i32_e64 s9, v5
	s_cbranch_execz .LBB13_3
; %bb.5:                                ;   in Loop: Header=BB13_4 Depth=1
	global_load_ushort v5, v[3:4], off
	s_waitcnt vmcnt(0)
	v_and_b32_e32 v5, 0x7fff, v5
	v_cmp_ne_u16_e32 vcc_lo, 0, v5
	v_cndmask_b32_e64 v5, 0, 1, vcc_lo
	v_add_co_u32 v1, vcc_lo, v1, v5
	v_add_co_ci_u32_e64 v2, null, 0, v2, vcc_lo
	s_branch .LBB13_3
.LBB13_6:
                                        ; implicit-def: $vgpr1_vgpr2
	s_load_dwordx2 s[4:5], s[4:5], 0x20
	s_cbranch_execnz .LBB13_10
	s_branch .LBB13_16
.LBB13_7:
	s_inst_prefetch 0x2
	v_add_nc_u32_e32 v3, s10, v0
	s_mov_b32 s8, exec_lo
	v_cmpx_gt_i32_e64 s9, v3
	s_cbranch_execz .LBB13_9
; %bb.8:
	v_ashrrev_i32_e32 v5, 31, v3
	v_mul_lo_u32 v6, s3, v3
	v_mad_u64_u32 v[3:4], null, s2, v3, 0
	s_ashr_i32 s7, s6, 31
	v_mul_lo_u32 v5, s2, v5
	s_lshl_b64 s[12:13], s[6:7], 1
	v_add3_u32 v4, v4, v5, v6
	v_lshlrev_b64 v[3:4], 1, v[3:4]
	v_add_co_u32 v3, vcc_lo, s0, v3
	v_add_co_ci_u32_e64 v4, null, s1, v4, vcc_lo
	v_add_co_u32 v3, vcc_lo, v3, s12
	v_add_co_ci_u32_e64 v4, null, s13, v4, vcc_lo
	global_load_ushort v3, v[3:4], off
	s_waitcnt vmcnt(0)
	v_and_b32_e32 v3, 0x7fff, v3
	v_cmp_ne_u16_e32 vcc_lo, 0, v3
	v_cndmask_b32_e64 v3, 0, 1, vcc_lo
	v_add_co_u32 v1, vcc_lo, v1, v3
	v_add_co_ci_u32_e64 v2, null, 0, v2, vcc_lo
.LBB13_9:
	s_or_b32 exec_lo, exec_lo, s8
	s_load_dwordx2 s[4:5], s[4:5], 0x20
	s_branch .LBB13_16
.LBB13_10:
	v_cmp_gt_i32_e32 vcc_lo, s9, v0
	s_ashr_i32 s7, s6, 31
	s_mul_hi_u32 s8, s2, s6
	s_mul_i32 s7, s2, s7
	s_mul_i32 s3, s3, s6
	v_cndmask_b32_e32 v1, 0, v0, vcc_lo
	s_add_i32 s7, s8, s7
	s_mul_i32 s2, s2, s6
	s_add_i32 s3, s7, s3
	s_lshl_b64 s[2:3], s[2:3], 1
	v_lshlrev_b32_e32 v3, 1, v1
	s_add_u32 s0, s0, s2
	s_addc_u32 s1, s1, s3
	v_mov_b32_e32 v1, 0
	v_mov_b32_e32 v2, 0
	v_add_co_u32 v3, s0, s0, v3
	v_add_co_ci_u32_e64 v4, null, s1, 0, s0
	s_cmpk_lt_i32 s9, 0x100
	s_mov_b32 s1, 0
	s_cbranch_scc1 .LBB13_13
; %bb.11:
	v_mov_b32_e32 v1, 0
	v_mov_b32_e32 v6, v4
	;; [unrolled: 1-line block ×4, first 2 shown]
	.p2align	6
.LBB13_12:                              ; =>This Inner Loop Header: Depth=1
	global_load_ushort v7, v[5:6], off
	v_add_co_u32 v5, vcc_lo, 0x200, v5
	v_add_co_ci_u32_e64 v6, null, 0, v6, vcc_lo
	s_addk_i32 s1, 0x100
	s_cmp_ge_i32 s1, s10
	s_waitcnt vmcnt(0)
	v_and_b32_e32 v7, 0x7fff, v7
	v_cmp_ne_u16_e64 s0, 0, v7
	v_cndmask_b32_e64 v7, 0, 1, s0
	v_add_co_u32 v1, vcc_lo, v1, v7
	v_add_co_ci_u32_e64 v2, null, 0, v2, vcc_lo
	s_cbranch_scc0 .LBB13_12
.LBB13_13:
	v_add_nc_u32_e32 v5, s10, v0
	s_mov_b32 s0, exec_lo
	v_cmpx_gt_i32_e64 s9, v5
	s_cbranch_execz .LBB13_15
; %bb.14:
	s_ashr_i32 s11, s10, 31
	s_lshl_b64 s[2:3], s[10:11], 1
	v_add_co_u32 v3, vcc_lo, v3, s2
	v_add_co_ci_u32_e64 v4, null, s3, v4, vcc_lo
	global_load_ushort v3, v[3:4], off
	s_waitcnt vmcnt(0)
	v_and_b32_e32 v3, 0x7fff, v3
	v_cmp_ne_u16_e32 vcc_lo, 0, v3
	v_cndmask_b32_e64 v3, 0, 1, vcc_lo
	v_add_co_u32 v1, vcc_lo, v1, v3
	v_add_co_ci_u32_e64 v2, null, 0, v2, vcc_lo
.LBB13_15:
	s_or_b32 exec_lo, exec_lo, s0
.LBB13_16:
	v_lshlrev_b32_e32 v3, 3, v0
	s_cmpk_lt_i32 s9, 0x100
	s_mov_b32 s0, -1
	v_cmp_eq_u32_e32 vcc_lo, 0, v0
	ds_write_b64 v3, v[1:2]
	s_waitcnt lgkmcnt(0)
	s_cbranch_scc0 .LBB13_27
; %bb.17:
	s_cmp_gt_i32 s9, 1
	s_mov_b32 s2, 1
	s_cselect_b32 s0, -1, 0
	s_barrier
	s_and_b32 s1, vcc_lo, s0
	buffer_gl0_inv
	s_and_saveexec_b32 s0, s1
	s_cbranch_execz .LBB13_26
; %bb.18:
	v_mov_b32_e32 v1, 0
	s_add_i32 s3, s9, -2
	s_add_i32 s1, s9, -1
	s_cmp_lt_u32 s3, 7
	ds_read_b64 v[1:2], v1
	s_cbranch_scc1 .LBB13_22
; %bb.19:
	s_and_b32 s2, s1, -8
	s_mov_b32 s7, 0
	s_mov_b32 s3, 8
	s_inst_prefetch 0x1
	.p2align	6
.LBB13_20:                              ; =>This Inner Loop Header: Depth=1
	v_mov_b32_e32 v16, s3
	s_mov_b32 s8, s7
	s_add_i32 s7, s7, 8
	s_add_i32 s3, s3, 64
	s_cmp_lg_u32 s2, s7
	ds_read2_b64 v[4:7], v16 offset1:1
	ds_read2_b64 v[8:11], v16 offset0:2 offset1:3
	ds_read2_b64 v[12:15], v16 offset0:4 offset1:5
	s_waitcnt lgkmcnt(2)
	v_add_co_u32 v1, vcc_lo, v1, v4
	v_add_co_ci_u32_e64 v2, null, v2, v5, vcc_lo
	v_add_co_u32 v1, vcc_lo, v1, v6
	v_add_co_ci_u32_e64 v2, null, v2, v7, vcc_lo
	ds_read2_b64 v[4:7], v16 offset0:6 offset1:7
	s_waitcnt lgkmcnt(2)
	v_add_co_u32 v1, vcc_lo, v1, v8
	v_add_co_ci_u32_e64 v2, null, v2, v9, vcc_lo
	v_add_co_u32 v1, vcc_lo, v1, v10
	v_add_co_ci_u32_e64 v2, null, v2, v11, vcc_lo
	s_waitcnt lgkmcnt(1)
	v_add_co_u32 v1, vcc_lo, v1, v12
	v_add_co_ci_u32_e64 v2, null, v2, v13, vcc_lo
	v_add_co_u32 v1, vcc_lo, v1, v14
	v_add_co_ci_u32_e64 v2, null, v2, v15, vcc_lo
	;; [unrolled: 5-line block ×3, first 2 shown]
	s_cbranch_scc1 .LBB13_20
; %bb.21:
	s_inst_prefetch 0x2
	s_add_i32 s2, s8, 9
.LBB13_22:
	s_and_b32 s1, s1, 7
	s_cmp_eq_u32 s1, 0
	s_cbranch_scc1 .LBB13_25
; %bb.23:
	s_lshl_b32 s2, s2, 3
.LBB13_24:                              ; =>This Inner Loop Header: Depth=1
	v_mov_b32_e32 v4, s2
	s_add_i32 s1, s1, -1
	s_add_i32 s2, s2, 8
	s_cmp_lg_u32 s1, 0
	ds_read_b64 v[4:5], v4
	s_waitcnt lgkmcnt(0)
	v_add_co_u32 v1, vcc_lo, v1, v4
	v_add_co_ci_u32_e64 v2, null, v2, v5, vcc_lo
	s_cbranch_scc1 .LBB13_24
.LBB13_25:
	v_mov_b32_e32 v4, 0
	s_waitcnt lgkmcnt(0)
	ds_write_b64 v4, v[1:2]
.LBB13_26:
	s_or_b32 exec_lo, exec_lo, s0
	s_mov_b32 s0, 0
	s_waitcnt lgkmcnt(0)
	s_barrier
.LBB13_27:
	s_and_b32 vcc_lo, exec_lo, s0
	s_cbranch_vccz .LBB13_45
; %bb.28:
	s_mov_b32 s0, exec_lo
	s_barrier
	buffer_gl0_inv
	v_cmpx_gt_u32_e32 0x80, v0
	s_cbranch_execz .LBB13_30
; %bb.29:
	ds_read2st64_b64 v[4:7], v3 offset1:2
	s_waitcnt lgkmcnt(0)
	v_add_co_u32 v1, vcc_lo, v4, v6
	v_add_co_ci_u32_e64 v2, null, v5, v7, vcc_lo
	ds_write_b64 v3, v[1:2]
.LBB13_30:
	s_or_b32 exec_lo, exec_lo, s0
	s_mov_b32 s0, exec_lo
	s_waitcnt lgkmcnt(0)
	s_barrier
	buffer_gl0_inv
	v_cmpx_gt_u32_e32 64, v0
	s_cbranch_execz .LBB13_32
; %bb.31:
	ds_read2st64_b64 v[4:7], v3 offset1:1
	s_waitcnt lgkmcnt(0)
	v_add_co_u32 v1, vcc_lo, v4, v6
	v_add_co_ci_u32_e64 v2, null, v5, v7, vcc_lo
	ds_write_b64 v3, v[1:2]
.LBB13_32:
	s_or_b32 exec_lo, exec_lo, s0
	s_mov_b32 s0, exec_lo
	s_waitcnt lgkmcnt(0)
	s_barrier
	buffer_gl0_inv
	v_cmpx_gt_u32_e32 32, v0
	s_cbranch_execz .LBB13_34
; %bb.33:
	ds_read2_b64 v[4:7], v3 offset1:32
	s_waitcnt lgkmcnt(0)
	v_add_co_u32 v1, vcc_lo, v4, v6
	v_add_co_ci_u32_e64 v2, null, v5, v7, vcc_lo
	ds_write_b64 v3, v[1:2]
.LBB13_34:
	s_or_b32 exec_lo, exec_lo, s0
	s_mov_b32 s0, exec_lo
	s_waitcnt lgkmcnt(0)
	s_barrier
	buffer_gl0_inv
	v_cmpx_gt_u32_e32 16, v0
	s_cbranch_execz .LBB13_36
; %bb.35:
	ds_read2_b64 v[4:7], v3 offset1:16
	s_waitcnt lgkmcnt(0)
	v_add_co_u32 v1, vcc_lo, v4, v6
	v_add_co_ci_u32_e64 v2, null, v5, v7, vcc_lo
	ds_write_b64 v3, v[1:2]
.LBB13_36:
	;; [unrolled: 14-line block ×5, first 2 shown]
	s_or_b32 exec_lo, exec_lo, s0
	s_mov_b32 s0, exec_lo
	s_waitcnt lgkmcnt(0)
	s_barrier
	buffer_gl0_inv
	v_cmpx_eq_u32_e32 0, v0
	s_cbranch_execz .LBB13_44
; %bb.43:
	v_mov_b32_e32 v5, 0
	ds_read_b128 v[1:4], v5
	s_waitcnt lgkmcnt(0)
	v_add_co_u32 v1, vcc_lo, v1, v3
	v_add_co_ci_u32_e64 v2, null, v2, v4, vcc_lo
	ds_write_b64 v5, v[1:2]
.LBB13_44:
	s_or_b32 exec_lo, exec_lo, s0
	s_waitcnt lgkmcnt(0)
	s_barrier
.LBB13_45:
	buffer_gl0_inv
	s_mov_b32 s0, exec_lo
	v_cmpx_eq_u32_e32 0, v0
	s_cbranch_execz .LBB13_47
; %bb.46:
	v_mov_b32_e32 v2, 0
	s_ashr_i32 s7, s6, 31
	s_lshl_b64 s[0:1], s[6:7], 3
	s_add_u32 s0, s4, s0
	ds_read_b64 v[0:1], v2
	s_addc_u32 s1, s5, s1
	s_waitcnt lgkmcnt(0)
	global_store_dwordx2 v2, v[0:1], s[0:1]
.LBB13_47:
	s_endpgm
	.section	.rodata,"a",@progbits
	.p2align	6, 0x0
	.amdhsa_kernel _ZN9rocsparseL14nnz_kernel_colILi256Eli18rocsparse_bfloat16EEv16rocsparse_order_T1_S3_PKT2_lPT0_
		.amdhsa_group_segment_fixed_size 2048
		.amdhsa_private_segment_fixed_size 0
		.amdhsa_kernarg_size 40
		.amdhsa_user_sgpr_count 6
		.amdhsa_user_sgpr_private_segment_buffer 1
		.amdhsa_user_sgpr_dispatch_ptr 0
		.amdhsa_user_sgpr_queue_ptr 0
		.amdhsa_user_sgpr_kernarg_segment_ptr 1
		.amdhsa_user_sgpr_dispatch_id 0
		.amdhsa_user_sgpr_flat_scratch_init 0
		.amdhsa_user_sgpr_private_segment_size 0
		.amdhsa_wavefront_size32 1
		.amdhsa_uses_dynamic_stack 0
		.amdhsa_system_sgpr_private_segment_wavefront_offset 0
		.amdhsa_system_sgpr_workgroup_id_x 1
		.amdhsa_system_sgpr_workgroup_id_y 0
		.amdhsa_system_sgpr_workgroup_id_z 0
		.amdhsa_system_sgpr_workgroup_info 0
		.amdhsa_system_vgpr_workitem_id 0
		.amdhsa_next_free_vgpr 17
		.amdhsa_next_free_sgpr 14
		.amdhsa_reserve_vcc 1
		.amdhsa_reserve_flat_scratch 0
		.amdhsa_float_round_mode_32 0
		.amdhsa_float_round_mode_16_64 0
		.amdhsa_float_denorm_mode_32 3
		.amdhsa_float_denorm_mode_16_64 3
		.amdhsa_dx10_clamp 1
		.amdhsa_ieee_mode 1
		.amdhsa_fp16_overflow 0
		.amdhsa_workgroup_processor_mode 1
		.amdhsa_memory_ordered 1
		.amdhsa_forward_progress 1
		.amdhsa_shared_vgpr_count 0
		.amdhsa_exception_fp_ieee_invalid_op 0
		.amdhsa_exception_fp_denorm_src 0
		.amdhsa_exception_fp_ieee_div_zero 0
		.amdhsa_exception_fp_ieee_overflow 0
		.amdhsa_exception_fp_ieee_underflow 0
		.amdhsa_exception_fp_ieee_inexact 0
		.amdhsa_exception_int_div_zero 0
	.end_amdhsa_kernel
	.section	.text._ZN9rocsparseL14nnz_kernel_colILi256Eli18rocsparse_bfloat16EEv16rocsparse_order_T1_S3_PKT2_lPT0_,"axG",@progbits,_ZN9rocsparseL14nnz_kernel_colILi256Eli18rocsparse_bfloat16EEv16rocsparse_order_T1_S3_PKT2_lPT0_,comdat
.Lfunc_end13:
	.size	_ZN9rocsparseL14nnz_kernel_colILi256Eli18rocsparse_bfloat16EEv16rocsparse_order_T1_S3_PKT2_lPT0_, .Lfunc_end13-_ZN9rocsparseL14nnz_kernel_colILi256Eli18rocsparse_bfloat16EEv16rocsparse_order_T1_S3_PKT2_lPT0_
                                        ; -- End function
	.set _ZN9rocsparseL14nnz_kernel_colILi256Eli18rocsparse_bfloat16EEv16rocsparse_order_T1_S3_PKT2_lPT0_.num_vgpr, 17
	.set _ZN9rocsparseL14nnz_kernel_colILi256Eli18rocsparse_bfloat16EEv16rocsparse_order_T1_S3_PKT2_lPT0_.num_agpr, 0
	.set _ZN9rocsparseL14nnz_kernel_colILi256Eli18rocsparse_bfloat16EEv16rocsparse_order_T1_S3_PKT2_lPT0_.numbered_sgpr, 14
	.set _ZN9rocsparseL14nnz_kernel_colILi256Eli18rocsparse_bfloat16EEv16rocsparse_order_T1_S3_PKT2_lPT0_.num_named_barrier, 0
	.set _ZN9rocsparseL14nnz_kernel_colILi256Eli18rocsparse_bfloat16EEv16rocsparse_order_T1_S3_PKT2_lPT0_.private_seg_size, 0
	.set _ZN9rocsparseL14nnz_kernel_colILi256Eli18rocsparse_bfloat16EEv16rocsparse_order_T1_S3_PKT2_lPT0_.uses_vcc, 1
	.set _ZN9rocsparseL14nnz_kernel_colILi256Eli18rocsparse_bfloat16EEv16rocsparse_order_T1_S3_PKT2_lPT0_.uses_flat_scratch, 0
	.set _ZN9rocsparseL14nnz_kernel_colILi256Eli18rocsparse_bfloat16EEv16rocsparse_order_T1_S3_PKT2_lPT0_.has_dyn_sized_stack, 0
	.set _ZN9rocsparseL14nnz_kernel_colILi256Eli18rocsparse_bfloat16EEv16rocsparse_order_T1_S3_PKT2_lPT0_.has_recursion, 0
	.set _ZN9rocsparseL14nnz_kernel_colILi256Eli18rocsparse_bfloat16EEv16rocsparse_order_T1_S3_PKT2_lPT0_.has_indirect_call, 0
	.section	.AMDGPU.csdata,"",@progbits
; Kernel info:
; codeLenInByte = 1892
; TotalNumSgprs: 16
; NumVgprs: 17
; ScratchSize: 0
; MemoryBound: 0
; FloatMode: 240
; IeeeMode: 1
; LDSByteSize: 2048 bytes/workgroup (compile time only)
; SGPRBlocks: 0
; VGPRBlocks: 2
; NumSGPRsForWavesPerEU: 16
; NumVGPRsForWavesPerEU: 17
; Occupancy: 16
; WaveLimiterHint : 0
; COMPUTE_PGM_RSRC2:SCRATCH_EN: 0
; COMPUTE_PGM_RSRC2:USER_SGPR: 6
; COMPUTE_PGM_RSRC2:TRAP_HANDLER: 0
; COMPUTE_PGM_RSRC2:TGID_X_EN: 1
; COMPUTE_PGM_RSRC2:TGID_Y_EN: 0
; COMPUTE_PGM_RSRC2:TGID_Z_EN: 0
; COMPUTE_PGM_RSRC2:TIDIG_COMP_CNT: 0
	.section	.text._ZN9rocsparseL14nnz_kernel_rowILi64ELi16EliDF16_EEv16rocsparse_order_T2_S2_PKT3_lPT1_,"axG",@progbits,_ZN9rocsparseL14nnz_kernel_rowILi64ELi16EliDF16_EEv16rocsparse_order_T2_S2_PKT3_lPT1_,comdat
	.globl	_ZN9rocsparseL14nnz_kernel_rowILi64ELi16EliDF16_EEv16rocsparse_order_T2_S2_PKT3_lPT1_ ; -- Begin function _ZN9rocsparseL14nnz_kernel_rowILi64ELi16EliDF16_EEv16rocsparse_order_T2_S2_PKT3_lPT1_
	.p2align	8
	.type	_ZN9rocsparseL14nnz_kernel_rowILi64ELi16EliDF16_EEv16rocsparse_order_T2_S2_PKT3_lPT1_,@function
_ZN9rocsparseL14nnz_kernel_rowILi64ELi16EliDF16_EEv16rocsparse_order_T2_S2_PKT3_lPT1_: ; @_ZN9rocsparseL14nnz_kernel_rowILi64ELi16EliDF16_EEv16rocsparse_order_T2_S2_PKT3_lPT1_
; %bb.0:
	s_clause 0x2
	s_load_dword s0, s[4:5], 0x34
	s_load_dwordx8 s[8:15], s[4:5], 0x0
	s_load_dwordx2 s[16:17], s[4:5], 0x20
	v_mov_b32_e32 v8, 0
	s_lshl_b32 s5, s6, 8
	s_mov_b32 s19, 0
	s_mov_b32 s18, exec_lo
	v_mov_b32_e32 v9, v8
	v_mov_b32_e32 v10, v8
	;; [unrolled: 1-line block ×7, first 2 shown]
	s_waitcnt lgkmcnt(0)
	s_and_b32 s0, s0, 0xffff
	v_mad_u32_u24 v23, v1, s0, v0
	s_ashr_i32 s0, s10, 31
	s_lshr_b32 s0, s0, 26
	s_add_i32 s11, s10, s0
	v_and_b32_e32 v24, 63, v23
	v_lshrrev_b32_e32 v0, 4, v23
	s_andn2_b32 s11, s11, 63
	v_or_b32_e32 v19, s5, v24
	v_and_b32_e32 v17, 0x7ffffc, v0
	v_mov_b32_e32 v0, v8
	v_mov_b32_e32 v1, v9
	;; [unrolled: 1-line block ×3, first 2 shown]
	v_or_b32_e32 v27, 64, v19
	v_or_b32_e32 v26, 0x80, v19
	;; [unrolled: 1-line block ×3, first 2 shown]
	v_mov_b32_e32 v3, v11
	v_mov_b32_e32 v4, v12
	;; [unrolled: 1-line block ×5, first 2 shown]
	v_cmpx_gt_i32_e64 s11, v17
	s_cbranch_execz .LBB14_28
; %bb.1:
	v_lshrrev_b32_e32 v16, 6, v23
	v_add_nc_u32_e32 v0, s5, v24
	v_cmp_gt_i32_e64 s0, s9, v19
	v_cmp_gt_i32_e64 s1, s9, v27
	;; [unrolled: 1-line block ×3, first 2 shown]
	v_lshlrev_b32_e32 v28, 2, v16
	v_ashrrev_i32_e32 v1, 31, v0
	v_mad_u64_u32 v[2:3], null, s14, v0, 0
	v_mul_lo_u32 v14, s15, v0
	v_or_b32_e32 v11, 3, v28
	v_mul_lo_u32 v15, s14, v1
	v_lshlrev_b64 v[6:7], 1, v[0:1]
	v_or_b32_e32 v18, 2, v28
	v_add_nc_u32_e32 v13, 64, v0
	v_mad_u64_u32 v[4:5], null, s14, v11, 0
	v_lshlrev_b32_e32 v36, 3, v16
	v_mad_u64_u32 v[9:10], null, s14, v18, 0
	v_ashrrev_i32_e32 v20, 31, v13
	v_add3_u32 v3, v3, v15, v14
	v_mul_lo_u32 v21, s15, v13
	v_mov_b32_e32 v1, v5
	v_add_nc_u32_e32 v29, 0x80, v0
	v_mul_lo_u32 v20, s14, v20
	v_mad_u64_u32 v[14:15], null, s14, v28, s[14:15]
	v_mad_u64_u32 v[11:12], null, s15, v11, v[1:2]
	;; [unrolled: 1-line block ×3, first 2 shown]
	v_lshlrev_b64 v[2:3], 1, v[2:3]
	v_mov_b32_e32 v1, v10
	v_ashrrev_i32_e32 v30, 31, v29
	v_add_nc_u32_e32 v31, 0xc0, v0
	v_mov_b32_e32 v5, v11
	v_cmp_gt_i32_e64 s3, s9, v25
	v_mad_u64_u32 v[10:11], null, s15, v18, v[1:2]
	v_add_co_u32 v18, vcc_lo, v2, v36
	v_lshlrev_b64 v[4:5], 1, v[4:5]
	v_add3_u32 v13, v13, v20, v21
	v_add_co_ci_u32_e64 v20, null, 0, v3, vcc_lo
	v_mov_b32_e32 v3, v15
	v_mul_lo_u32 v32, s15, v31
	v_add_co_u32 v21, vcc_lo, v4, v6
	v_add_co_ci_u32_e64 v22, null, v5, v7, vcc_lo
	v_mad_u64_u32 v[4:5], null, s14, v29, 0
	v_lshlrev_b64 v[1:2], 1, v[12:13]
	v_mul_lo_u32 v13, s14, v30
	v_mul_lo_u32 v30, s15, v29
	s_cmp_lg_u32 s8, 1
	s_cselect_b32 s20, -1, 0
	v_mad_u64_u32 v[11:12], null, s15, v28, v[3:4]
	v_ashrrev_i32_e32 v3, 31, v31
	v_add_co_u32 v28, vcc_lo, v1, v36
	v_add_co_ci_u32_e64 v29, null, 0, v2, vcc_lo
	v_add3_u32 v5, v5, v13, v30
	v_mul_lo_u32 v13, s14, v3
	v_mad_u64_u32 v[2:3], null, s14, v16, 0
	v_lshlrev_b64 v[0:1], 1, v[9:10]
	v_mad_u64_u32 v[9:10], null, s14, v31, 0
	v_mov_b32_e32 v15, v11
	s_lshl_b64 s[6:7], s[14:15], 7
	v_add_co_u32 v30, vcc_lo, v0, v6
	v_mov_b32_e32 v0, v3
	v_add_co_ci_u32_e64 v31, null, v1, v7, vcc_lo
	v_lshlrev_b64 v[3:4], 1, v[4:5]
	v_add3_u32 v10, v10, v13, v32
	v_mad_u64_u32 v[0:1], null, s15, v16, v[0:1]
	v_lshlrev_b64 v[11:12], 1, v[14:15]
	v_mov_b32_e32 v13, v8
	v_add_co_u32 v32, vcc_lo, v3, v36
	v_add_co_ci_u32_e64 v33, null, 0, v4, vcc_lo
	v_mov_b32_e32 v3, v0
	v_lshlrev_b64 v[4:5], 1, v[9:10]
	v_add_co_u32 v34, vcc_lo, v11, v6
	v_add_co_ci_u32_e64 v35, null, v12, v7, vcc_lo
	v_lshlrev_b64 v[0:1], 3, v[2:3]
	v_add_co_u32 v36, vcc_lo, v4, v36
	v_mov_b32_e32 v9, v8
	v_mov_b32_e32 v10, v8
	;; [unrolled: 1-line block ×6, first 2 shown]
	v_add_co_ci_u32_e64 v37, null, 0, v5, vcc_lo
	v_add_co_u32 v38, vcc_lo, v0, v6
	v_add_co_ci_u32_e64 v39, null, v1, v7, vcc_lo
	v_mov_b32_e32 v0, v8
	v_mov_b32_e32 v1, v9
	v_mov_b32_e32 v2, v10
	v_mov_b32_e32 v3, v11
	v_mov_b32_e32 v4, v12
	v_mov_b32_e32 v5, v13
	v_mov_b32_e32 v6, v14
	v_mov_b32_e32 v7, v15
	s_branch .LBB14_4
.LBB14_2:                               ;   in Loop: Header=BB14_4 Depth=1
	v_mov_b32_e32 v0, v9
	v_mov_b32_e32 v1, v10
	;; [unrolled: 1-line block ×8, first 2 shown]
.LBB14_3:                               ;   in Loop: Header=BB14_4 Depth=1
	s_or_b32 exec_lo, exec_lo, s4
	v_add_co_u32 v18, vcc_lo, 0x80, v18
	v_add_co_ci_u32_e64 v20, null, 0, v20, vcc_lo
	v_add_co_u32 v21, vcc_lo, v21, s6
	v_add_co_ci_u32_e64 v22, null, s7, v22, vcc_lo
	;; [unrolled: 2-line block ×4, first 2 shown]
	v_add_co_u32 v32, vcc_lo, 0x80, v32
	v_add_nc_u32_e32 v17, 64, v17
	v_add_co_ci_u32_e64 v33, null, 0, v33, vcc_lo
	v_add_co_u32 v34, vcc_lo, v34, s6
	v_add_co_ci_u32_e64 v35, null, s7, v35, vcc_lo
	v_add_co_u32 v36, vcc_lo, 0x80, v36
	v_add_co_ci_u32_e64 v37, null, 0, v37, vcc_lo
	v_cmp_le_i32_e32 vcc_lo, s11, v17
	v_add_co_u32 v38, s4, v38, s6
	v_add_co_ci_u32_e64 v39, null, s7, v39, s4
	s_or_b32 s19, vcc_lo, s19
	s_andn2_b32 exec_lo, exec_lo, s19
	s_cbranch_execz .LBB14_27
.LBB14_4:                               ; =>This Inner Loop Header: Depth=1
	s_and_saveexec_b32 s4, s0
	s_cbranch_execnz .LBB14_8
; %bb.5:                                ;   in Loop: Header=BB14_4 Depth=1
	s_or_b32 exec_lo, exec_lo, s4
	s_and_saveexec_b32 s4, s1
	s_cbranch_execnz .LBB14_13
.LBB14_6:                               ;   in Loop: Header=BB14_4 Depth=1
	s_or_b32 exec_lo, exec_lo, s4
	s_and_saveexec_b32 s4, s2
	s_cbranch_execnz .LBB14_18
.LBB14_7:                               ;   in Loop: Header=BB14_4 Depth=1
	s_or_b32 exec_lo, exec_lo, s4
	s_and_saveexec_b32 s4, s3
	s_cbranch_execz .LBB14_3
	s_branch .LBB14_23
.LBB14_8:                               ;   in Loop: Header=BB14_4 Depth=1
	s_andn2_b32 vcc_lo, exec_lo, s20
	s_mov_b32 s21, -1
                                        ; implicit-def: $vgpr9_vgpr10_vgpr11_vgpr12_vgpr13_vgpr14_vgpr15_vgpr16
	s_cbranch_vccnz .LBB14_10
; %bb.9:                                ;   in Loop: Header=BB14_4 Depth=1
	v_add_co_u32 v9, vcc_lo, s12, v18
	v_add_co_ci_u32_e64 v10, null, s13, v20, vcc_lo
	v_add_co_u32 v11, vcc_lo, v0, 1
	v_add_co_ci_u32_e64 v12, null, 0, v1, vcc_lo
	global_load_dwordx2 v[9:10], v[9:10], off
	v_mov_b32_e32 v15, v6
	s_mov_b32 s21, 0
	s_waitcnt vmcnt(0)
	v_cmp_neq_f16_e32 vcc_lo, 0, v9
	v_cndmask_b32_e32 v11, v0, v11, vcc_lo
	v_cndmask_b32_e32 v12, v1, v12, vcc_lo
	v_add_co_u32 v13, vcc_lo, v11, 1
	v_add_co_ci_u32_e64 v14, null, 0, v12, vcc_lo
	v_cmp_neq_f16_sdwa vcc_lo, v9, v8 src0_sel:WORD_1 src1_sel:DWORD
	v_cndmask_b32_e32 v11, v11, v13, vcc_lo
	v_cndmask_b32_e32 v9, v12, v14, vcc_lo
	v_mov_b32_e32 v14, v5
	v_add_co_u32 v12, vcc_lo, v11, 1
	v_add_co_ci_u32_e64 v13, null, 0, v9, vcc_lo
	v_cmp_neq_f16_e32 vcc_lo, 0, v10
	v_cndmask_b32_e32 v16, v11, v12, vcc_lo
	v_cndmask_b32_e32 v9, v9, v13, vcc_lo
	v_mov_b32_e32 v11, v2
	v_mov_b32_e32 v12, v3
	;; [unrolled: 1-line block ×3, first 2 shown]
	v_add_co_u32 v40, vcc_lo, v16, 1
	v_add_co_ci_u32_e64 v41, null, 0, v9, vcc_lo
	v_cmp_neq_f16_sdwa vcc_lo, v10, v8 src0_sel:WORD_1 src1_sel:DWORD
	v_cndmask_b32_e32 v10, v9, v41, vcc_lo
	v_cndmask_b32_e32 v9, v16, v40, vcc_lo
	v_mov_b32_e32 v16, v7
.LBB14_10:                              ;   in Loop: Header=BB14_4 Depth=1
	s_andn2_b32 vcc_lo, exec_lo, s21
	s_cbranch_vccnz .LBB14_12
; %bb.11:                               ;   in Loop: Header=BB14_4 Depth=1
	v_add_co_u32 v9, vcc_lo, s12, v38
	v_add_co_ci_u32_e64 v10, null, s13, v39, vcc_lo
	global_load_ushort v11, v[9:10], off
	v_add_co_u32 v9, vcc_lo, s12, v34
	v_add_co_ci_u32_e64 v10, null, s13, v35, vcc_lo
	global_load_ushort v12, v[9:10], off
	v_add_co_u32 v9, vcc_lo, s12, v30
	v_add_co_ci_u32_e64 v10, null, s13, v31, vcc_lo
	global_load_ushort v13, v[9:10], off
	v_add_co_u32 v9, vcc_lo, s12, v21
	v_add_co_ci_u32_e64 v10, null, s13, v22, vcc_lo
	global_load_ushort v9, v[9:10], off
	v_add_co_u32 v10, vcc_lo, v0, 1
	v_add_co_ci_u32_e64 v14, null, 0, v1, vcc_lo
	s_waitcnt vmcnt(3)
	v_cmp_neq_f16_e32 vcc_lo, 0, v11
	v_cndmask_b32_e32 v0, v0, v10, vcc_lo
	v_cndmask_b32_e32 v1, v1, v14, vcc_lo
	v_add_co_u32 v10, vcc_lo, v0, 1
	v_add_co_ci_u32_e64 v11, null, 0, v1, vcc_lo
	s_waitcnt vmcnt(2)
	v_cmp_neq_f16_e32 vcc_lo, 0, v12
	v_cndmask_b32_e32 v0, v0, v10, vcc_lo
	v_cndmask_b32_e32 v1, v1, v11, vcc_lo
	;; [unrolled: 6-line block ×4, first 2 shown]
	v_mov_b32_e32 v16, v7
	v_mov_b32_e32 v15, v6
	;; [unrolled: 1-line block ×8, first 2 shown]
.LBB14_12:                              ;   in Loop: Header=BB14_4 Depth=1
	v_mov_b32_e32 v0, v9
	v_mov_b32_e32 v1, v10
	v_mov_b32_e32 v2, v11
	v_mov_b32_e32 v3, v12
	v_mov_b32_e32 v4, v13
	v_mov_b32_e32 v5, v14
	v_mov_b32_e32 v6, v15
	v_mov_b32_e32 v7, v16
	s_or_b32 exec_lo, exec_lo, s4
	s_and_saveexec_b32 s4, s1
	s_cbranch_execz .LBB14_6
.LBB14_13:                              ;   in Loop: Header=BB14_4 Depth=1
	s_andn2_b32 vcc_lo, exec_lo, s20
	s_mov_b32 s21, -1
                                        ; implicit-def: $vgpr9_vgpr10_vgpr11_vgpr12_vgpr13_vgpr14_vgpr15_vgpr16
	s_cbranch_vccnz .LBB14_15
; %bb.14:                               ;   in Loop: Header=BB14_4 Depth=1
	v_add_co_u32 v9, vcc_lo, s12, v28
	v_add_co_ci_u32_e64 v10, null, s13, v29, vcc_lo
	v_mov_b32_e32 v15, v6
	s_mov_b32 s21, 0
	global_load_dwordx2 v[10:11], v[9:10], off
	v_add_co_u32 v9, vcc_lo, v2, 1
	v_add_co_ci_u32_e64 v12, null, 0, v3, vcc_lo
	s_waitcnt vmcnt(0)
	v_cmp_neq_f16_e32 vcc_lo, 0, v10
	v_cndmask_b32_e32 v9, v2, v9, vcc_lo
	v_cndmask_b32_e32 v12, v3, v12, vcc_lo
	v_add_co_u32 v13, vcc_lo, v9, 1
	v_add_co_ci_u32_e64 v14, null, 0, v12, vcc_lo
	v_cmp_neq_f16_sdwa vcc_lo, v10, v8 src0_sel:WORD_1 src1_sel:DWORD
	v_cndmask_b32_e32 v9, v9, v13, vcc_lo
	v_cndmask_b32_e32 v10, v12, v14, vcc_lo
	v_mov_b32_e32 v14, v5
	v_add_co_u32 v12, vcc_lo, v9, 1
	v_add_co_ci_u32_e64 v13, null, 0, v10, vcc_lo
	v_cmp_neq_f16_e32 vcc_lo, 0, v11
	v_cndmask_b32_e32 v40, v9, v12, vcc_lo
	v_cndmask_b32_e32 v16, v10, v13, vcc_lo
	v_mov_b32_e32 v9, v0
	v_mov_b32_e32 v10, v1
	;; [unrolled: 1-line block ×3, first 2 shown]
	v_add_co_u32 v41, vcc_lo, v40, 1
	v_add_co_ci_u32_e64 v12, null, 0, v16, vcc_lo
	v_cmp_neq_f16_sdwa vcc_lo, v11, v8 src0_sel:WORD_1 src1_sel:DWORD
	v_cndmask_b32_e32 v12, v16, v12, vcc_lo
	v_cndmask_b32_e32 v11, v40, v41, vcc_lo
	v_mov_b32_e32 v16, v7
.LBB14_15:                              ;   in Loop: Header=BB14_4 Depth=1
	s_andn2_b32 vcc_lo, exec_lo, s21
	s_cbranch_vccnz .LBB14_17
; %bb.16:                               ;   in Loop: Header=BB14_4 Depth=1
	v_add_co_u32 v9, vcc_lo, s12, v38
	v_add_co_ci_u32_e64 v10, null, s13, v39, vcc_lo
	global_load_ushort v11, v[9:10], off offset:128
	v_add_co_u32 v9, vcc_lo, s12, v34
	v_add_co_ci_u32_e64 v10, null, s13, v35, vcc_lo
	global_load_ushort v12, v[9:10], off offset:128
	;; [unrolled: 3-line block ×4, first 2 shown]
	v_add_co_u32 v10, vcc_lo, v2, 1
	v_add_co_ci_u32_e64 v14, null, 0, v3, vcc_lo
	s_waitcnt vmcnt(3)
	v_cmp_neq_f16_e32 vcc_lo, 0, v11
	v_cndmask_b32_e32 v2, v2, v10, vcc_lo
	v_cndmask_b32_e32 v3, v3, v14, vcc_lo
	v_add_co_u32 v10, vcc_lo, v2, 1
	v_add_co_ci_u32_e64 v11, null, 0, v3, vcc_lo
	s_waitcnt vmcnt(2)
	v_cmp_neq_f16_e32 vcc_lo, 0, v12
	v_cndmask_b32_e32 v2, v2, v10, vcc_lo
	v_cndmask_b32_e32 v3, v3, v11, vcc_lo
	v_add_co_u32 v10, vcc_lo, v2, 1
	v_add_co_ci_u32_e64 v11, null, 0, v3, vcc_lo
	s_waitcnt vmcnt(1)
	v_cmp_neq_f16_e32 vcc_lo, 0, v13
	v_cndmask_b32_e32 v2, v2, v10, vcc_lo
	v_cndmask_b32_e32 v3, v3, v11, vcc_lo
	v_add_co_u32 v10, vcc_lo, v2, 1
	v_add_co_ci_u32_e64 v11, null, 0, v3, vcc_lo
	s_waitcnt vmcnt(0)
	v_cmp_neq_f16_e32 vcc_lo, 0, v9
	v_cndmask_b32_e32 v3, v3, v11, vcc_lo
	v_cndmask_b32_e32 v2, v2, v10, vcc_lo
	v_mov_b32_e32 v16, v7
	v_mov_b32_e32 v15, v6
	;; [unrolled: 1-line block ×8, first 2 shown]
.LBB14_17:                              ;   in Loop: Header=BB14_4 Depth=1
	v_mov_b32_e32 v0, v9
	v_mov_b32_e32 v1, v10
	;; [unrolled: 1-line block ×8, first 2 shown]
	s_or_b32 exec_lo, exec_lo, s4
	s_and_saveexec_b32 s4, s2
	s_cbranch_execz .LBB14_7
.LBB14_18:                              ;   in Loop: Header=BB14_4 Depth=1
	s_andn2_b32 vcc_lo, exec_lo, s20
	s_mov_b32 s21, -1
                                        ; implicit-def: $vgpr9_vgpr10_vgpr11_vgpr12_vgpr13_vgpr14_vgpr15_vgpr16
	s_cbranch_vccnz .LBB14_20
; %bb.19:                               ;   in Loop: Header=BB14_4 Depth=1
	v_add_co_u32 v9, vcc_lo, s12, v32
	v_add_co_ci_u32_e64 v10, null, s13, v33, vcc_lo
	v_mov_b32_e32 v15, v6
	s_mov_b32 s21, 0
	global_load_dwordx2 v[10:11], v[9:10], off
	v_add_co_u32 v9, vcc_lo, v4, 1
	v_add_co_ci_u32_e64 v12, null, 0, v5, vcc_lo
	s_waitcnt vmcnt(0)
	v_cmp_neq_f16_e32 vcc_lo, 0, v10
	v_cndmask_b32_e32 v9, v4, v9, vcc_lo
	v_cndmask_b32_e32 v12, v5, v12, vcc_lo
	v_add_co_u32 v13, vcc_lo, v9, 1
	v_add_co_ci_u32_e64 v14, null, 0, v12, vcc_lo
	v_cmp_neq_f16_sdwa vcc_lo, v10, v8 src0_sel:WORD_1 src1_sel:DWORD
	v_cndmask_b32_e32 v9, v9, v13, vcc_lo
	v_cndmask_b32_e32 v10, v12, v14, vcc_lo
	v_add_co_u32 v12, vcc_lo, v9, 1
	v_add_co_ci_u32_e64 v13, null, 0, v10, vcc_lo
	v_cmp_neq_f16_e32 vcc_lo, 0, v11
	v_cndmask_b32_e32 v16, v9, v12, vcc_lo
	v_cndmask_b32_e32 v13, v10, v13, vcc_lo
	v_mov_b32_e32 v9, v0
	v_mov_b32_e32 v10, v1
	;; [unrolled: 1-line block ×3, first 2 shown]
	v_add_co_u32 v40, vcc_lo, v16, 1
	v_add_co_ci_u32_e64 v14, null, 0, v13, vcc_lo
	v_cmp_neq_f16_sdwa vcc_lo, v11, v8 src0_sel:WORD_1 src1_sel:DWORD
	v_mov_b32_e32 v11, v2
	v_cndmask_b32_e32 v14, v13, v14, vcc_lo
	v_cndmask_b32_e32 v13, v16, v40, vcc_lo
	v_mov_b32_e32 v16, v7
.LBB14_20:                              ;   in Loop: Header=BB14_4 Depth=1
	s_andn2_b32 vcc_lo, exec_lo, s21
	s_cbranch_vccnz .LBB14_22
; %bb.21:                               ;   in Loop: Header=BB14_4 Depth=1
	v_add_co_u32 v9, vcc_lo, s12, v38
	v_add_co_ci_u32_e64 v10, null, s13, v39, vcc_lo
	global_load_ushort v11, v[9:10], off offset:256
	v_add_co_u32 v9, vcc_lo, s12, v34
	v_add_co_ci_u32_e64 v10, null, s13, v35, vcc_lo
	global_load_ushort v12, v[9:10], off offset:256
	;; [unrolled: 3-line block ×4, first 2 shown]
	v_add_co_u32 v10, vcc_lo, v4, 1
	v_add_co_ci_u32_e64 v14, null, 0, v5, vcc_lo
	s_waitcnt vmcnt(3)
	v_cmp_neq_f16_e32 vcc_lo, 0, v11
	v_cndmask_b32_e32 v4, v4, v10, vcc_lo
	v_cndmask_b32_e32 v5, v5, v14, vcc_lo
	v_add_co_u32 v10, vcc_lo, v4, 1
	v_add_co_ci_u32_e64 v11, null, 0, v5, vcc_lo
	s_waitcnt vmcnt(2)
	v_cmp_neq_f16_e32 vcc_lo, 0, v12
	v_cndmask_b32_e32 v4, v4, v10, vcc_lo
	v_cndmask_b32_e32 v5, v5, v11, vcc_lo
	;; [unrolled: 6-line block ×4, first 2 shown]
	v_mov_b32_e32 v16, v7
	v_mov_b32_e32 v15, v6
	;; [unrolled: 1-line block ×8, first 2 shown]
.LBB14_22:                              ;   in Loop: Header=BB14_4 Depth=1
	v_mov_b32_e32 v0, v9
	v_mov_b32_e32 v1, v10
	v_mov_b32_e32 v2, v11
	v_mov_b32_e32 v3, v12
	v_mov_b32_e32 v4, v13
	v_mov_b32_e32 v5, v14
	v_mov_b32_e32 v6, v15
	v_mov_b32_e32 v7, v16
	s_or_b32 exec_lo, exec_lo, s4
	s_and_saveexec_b32 s4, s3
	s_cbranch_execz .LBB14_3
.LBB14_23:                              ;   in Loop: Header=BB14_4 Depth=1
	s_andn2_b32 vcc_lo, exec_lo, s20
	s_mov_b32 s21, -1
                                        ; implicit-def: $vgpr9_vgpr10_vgpr11_vgpr12_vgpr13_vgpr14_vgpr15_vgpr16
	s_cbranch_vccnz .LBB14_25
; %bb.24:                               ;   in Loop: Header=BB14_4 Depth=1
	v_add_co_u32 v9, vcc_lo, s12, v36
	v_add_co_ci_u32_e64 v10, null, s13, v37, vcc_lo
	s_mov_b32 s21, 0
	global_load_dwordx2 v[10:11], v[9:10], off
	v_add_co_u32 v9, vcc_lo, v6, 1
	v_add_co_ci_u32_e64 v12, null, 0, v7, vcc_lo
	s_waitcnt vmcnt(0)
	v_cmp_neq_f16_e32 vcc_lo, 0, v10
	v_cndmask_b32_e32 v9, v6, v9, vcc_lo
	v_cndmask_b32_e32 v12, v7, v12, vcc_lo
	v_add_co_u32 v13, vcc_lo, v9, 1
	v_add_co_ci_u32_e64 v14, null, 0, v12, vcc_lo
	v_cmp_neq_f16_sdwa vcc_lo, v10, v8 src0_sel:WORD_1 src1_sel:DWORD
	v_cndmask_b32_e32 v9, v9, v13, vcc_lo
	v_cndmask_b32_e32 v10, v12, v14, vcc_lo
	v_add_co_u32 v12, vcc_lo, v9, 1
	v_add_co_ci_u32_e64 v13, null, 0, v10, vcc_lo
	v_cmp_neq_f16_e32 vcc_lo, 0, v11
	v_cndmask_b32_e32 v15, v9, v12, vcc_lo
	v_cndmask_b32_e32 v14, v10, v13, vcc_lo
	v_mov_b32_e32 v9, v0
	v_mov_b32_e32 v10, v1
	;; [unrolled: 1-line block ×3, first 2 shown]
	v_add_co_u32 v40, vcc_lo, v15, 1
	v_add_co_ci_u32_e64 v16, null, 0, v14, vcc_lo
	v_cmp_neq_f16_sdwa vcc_lo, v11, v8 src0_sel:WORD_1 src1_sel:DWORD
	v_mov_b32_e32 v11, v2
	v_mov_b32_e32 v13, v4
	v_cndmask_b32_e32 v16, v14, v16, vcc_lo
	v_cndmask_b32_e32 v15, v15, v40, vcc_lo
	v_mov_b32_e32 v14, v5
.LBB14_25:                              ;   in Loop: Header=BB14_4 Depth=1
	s_andn2_b32 vcc_lo, exec_lo, s21
	s_cbranch_vccnz .LBB14_2
; %bb.26:                               ;   in Loop: Header=BB14_4 Depth=1
	v_add_co_u32 v9, vcc_lo, s12, v38
	v_add_co_ci_u32_e64 v10, null, s13, v39, vcc_lo
	global_load_ushort v11, v[9:10], off offset:384
	v_add_co_u32 v9, vcc_lo, s12, v34
	v_add_co_ci_u32_e64 v10, null, s13, v35, vcc_lo
	global_load_ushort v12, v[9:10], off offset:384
	;; [unrolled: 3-line block ×4, first 2 shown]
	v_add_co_u32 v10, vcc_lo, v6, 1
	v_add_co_ci_u32_e64 v14, null, 0, v7, vcc_lo
	s_waitcnt vmcnt(3)
	v_cmp_neq_f16_e32 vcc_lo, 0, v11
	v_cndmask_b32_e32 v6, v6, v10, vcc_lo
	v_cndmask_b32_e32 v7, v7, v14, vcc_lo
	v_add_co_u32 v10, vcc_lo, v6, 1
	v_add_co_ci_u32_e64 v11, null, 0, v7, vcc_lo
	s_waitcnt vmcnt(2)
	v_cmp_neq_f16_e32 vcc_lo, 0, v12
	v_cndmask_b32_e32 v6, v6, v10, vcc_lo
	v_cndmask_b32_e32 v7, v7, v11, vcc_lo
	;; [unrolled: 6-line block ×4, first 2 shown]
	v_mov_b32_e32 v16, v7
	v_mov_b32_e32 v15, v6
	;; [unrolled: 1-line block ×8, first 2 shown]
	s_branch .LBB14_2
.LBB14_27:
	s_or_b32 exec_lo, exec_lo, s19
.LBB14_28:
	s_or_b32 exec_lo, exec_lo, s18
	s_sub_i32 s0, s10, s11
	s_cmp_lt_i32 s0, 1
	s_cbranch_scc1 .LBB14_134
; %bb.29:
	v_mov_b32_e32 v18, 0
	v_ashrrev_i32_e32 v20, 31, v19
	s_cmp_lg_u32 s8, 1
	s_cselect_b32 s1, -1, 0
	v_lshlrev_b64 v[8:9], 1, v[17:18]
	v_add_co_u32 v16, s0, s12, v8
	v_add_co_ci_u32_e64 v28, null, s13, v9, s0
	s_mov_b32 s0, exec_lo
	v_cmpx_gt_i32_e64 s9, v19
	s_cbranch_execnz .LBB14_33
; %bb.30:
	s_or_b32 exec_lo, exec_lo, s0
	s_mov_b32 s0, exec_lo
	v_cmpx_gt_i32_e64 s9, v27
	s_cbranch_execnz .LBB14_58
.LBB14_31:
	s_or_b32 exec_lo, exec_lo, s0
	s_mov_b32 s0, exec_lo
	v_cmpx_gt_i32_e64 s9, v26
	s_cbranch_execnz .LBB14_83
.LBB14_32:
	s_or_b32 exec_lo, exec_lo, s0
	s_mov_b32 s2, exec_lo
	v_cmpx_gt_i32_e64 s9, v25
	s_cbranch_execnz .LBB14_108
	s_branch .LBB14_133
.LBB14_33:
	v_mul_lo_u32 v10, s15, v19
	v_mul_lo_u32 v11, s14, v20
	v_mad_u64_u32 v[8:9], null, s14, v19, 0
	s_mov_b32 s2, exec_lo
	v_add3_u32 v9, v9, v11, v10
	v_lshlrev_b64 v[10:11], 1, v[19:20]
	v_lshlrev_b64 v[8:9], 1, v[8:9]
	v_add_co_u32 v18, vcc_lo, s12, v10
	v_add_co_ci_u32_e64 v29, null, s13, v11, vcc_lo
	v_add_co_u32 v21, vcc_lo, v16, v8
	v_add_co_ci_u32_e64 v22, null, v28, v9, vcc_lo
	v_cmpx_gt_i32_e64 s10, v17
	s_cbranch_execz .LBB14_39
; %bb.34:
	s_and_b32 vcc_lo, exec_lo, s1
	s_cbranch_vccz .LBB14_36
; %bb.35:
	global_load_ushort v8, v[21:22], off
	s_waitcnt vmcnt(0)
	v_cmp_neq_f16_e32 vcc_lo, 0, v8
	v_cndmask_b32_e64 v8, 0, 1, vcc_lo
	v_add_co_u32 v30, vcc_lo, v0, v8
	v_add_co_ci_u32_e64 v31, null, 0, v1, vcc_lo
	v_mov_b32_e32 v15, v7
	v_mov_b32_e32 v9, v1
	;; [unrolled: 1-line block ×10, first 2 shown]
	s_cbranch_execz .LBB14_37
	s_branch .LBB14_38
.LBB14_36:
                                        ; implicit-def: $vgpr8_vgpr9_vgpr10_vgpr11_vgpr12_vgpr13_vgpr14_vgpr15
.LBB14_37:
	v_mad_u64_u32 v[8:9], null, s14, v17, 0
	v_mad_u64_u32 v[9:10], null, s15, v17, v[9:10]
	v_lshlrev_b64 v[8:9], 1, v[8:9]
	v_add_co_u32 v8, vcc_lo, v18, v8
	v_add_co_ci_u32_e64 v9, null, v29, v9, vcc_lo
	global_load_ushort v8, v[8:9], off
	s_waitcnt vmcnt(0)
	v_cmp_neq_f16_e32 vcc_lo, 0, v8
	v_cndmask_b32_e64 v8, 0, 1, vcc_lo
	v_add_co_u32 v0, vcc_lo, v0, v8
	v_add_co_ci_u32_e64 v1, null, 0, v1, vcc_lo
	v_mov_b32_e32 v15, v7
	v_mov_b32_e32 v14, v6
	;; [unrolled: 1-line block ×8, first 2 shown]
.LBB14_38:
	v_mov_b32_e32 v0, v8
	v_mov_b32_e32 v1, v9
	;; [unrolled: 1-line block ×8, first 2 shown]
.LBB14_39:
	s_or_b32 exec_lo, exec_lo, s2
	v_or_b32_e32 v30, 1, v17
	s_mov_b32 s2, exec_lo
	v_cmpx_gt_i32_e64 s10, v30
	s_cbranch_execz .LBB14_45
; %bb.40:
	s_andn2_b32 vcc_lo, exec_lo, s1
	s_cbranch_vccnz .LBB14_42
; %bb.41:
	global_load_ushort v8, v[21:22], off offset:2
	s_waitcnt vmcnt(0)
	v_cmp_neq_f16_e32 vcc_lo, 0, v8
	v_cndmask_b32_e64 v8, 0, 1, vcc_lo
	v_add_co_u32 v31, vcc_lo, v0, v8
	v_add_co_ci_u32_e64 v32, null, 0, v1, vcc_lo
	v_mov_b32_e32 v15, v7
	v_mov_b32_e32 v9, v1
	v_mov_b32_e32 v8, v0
	v_mov_b32_e32 v14, v6
	v_mov_b32_e32 v13, v5
	v_mov_b32_e32 v12, v4
	v_mov_b32_e32 v11, v3
	v_mov_b32_e32 v10, v2
	v_mov_b32_e32 v8, v31
	v_mov_b32_e32 v9, v32
	s_cbranch_execz .LBB14_43
	s_branch .LBB14_44
.LBB14_42:
                                        ; implicit-def: $vgpr8_vgpr9_vgpr10_vgpr11_vgpr12_vgpr13_vgpr14_vgpr15
.LBB14_43:
	v_mad_u64_u32 v[8:9], null, s14, v30, 0
	v_mad_u64_u32 v[9:10], null, s15, v30, v[9:10]
	v_lshlrev_b64 v[8:9], 1, v[8:9]
	v_add_co_u32 v8, vcc_lo, v18, v8
	v_add_co_ci_u32_e64 v9, null, v29, v9, vcc_lo
	global_load_ushort v8, v[8:9], off
	s_waitcnt vmcnt(0)
	v_cmp_neq_f16_e32 vcc_lo, 0, v8
	v_cndmask_b32_e64 v8, 0, 1, vcc_lo
	v_add_co_u32 v0, vcc_lo, v0, v8
	v_add_co_ci_u32_e64 v1, null, 0, v1, vcc_lo
	v_mov_b32_e32 v15, v7
	v_mov_b32_e32 v14, v6
	v_mov_b32_e32 v13, v5
	v_mov_b32_e32 v12, v4
	v_mov_b32_e32 v11, v3
	v_mov_b32_e32 v10, v2
	v_mov_b32_e32 v9, v1
	v_mov_b32_e32 v8, v0
.LBB14_44:
	v_mov_b32_e32 v0, v8
	v_mov_b32_e32 v1, v9
	v_mov_b32_e32 v2, v10
	v_mov_b32_e32 v3, v11
	v_mov_b32_e32 v4, v12
	v_mov_b32_e32 v5, v13
	v_mov_b32_e32 v6, v14
	v_mov_b32_e32 v7, v15
.LBB14_45:
	s_or_b32 exec_lo, exec_lo, s2
	v_or_b32_e32 v30, 2, v17
	s_mov_b32 s2, exec_lo
	v_cmpx_gt_i32_e64 s10, v30
	s_cbranch_execz .LBB14_51
; %bb.46:
	s_andn2_b32 vcc_lo, exec_lo, s1
	s_cbranch_vccnz .LBB14_48
; %bb.47:
	global_load_ushort v8, v[21:22], off offset:4
	s_waitcnt vmcnt(0)
	v_cmp_neq_f16_e32 vcc_lo, 0, v8
	v_cndmask_b32_e64 v8, 0, 1, vcc_lo
	v_add_co_u32 v31, vcc_lo, v0, v8
	v_add_co_ci_u32_e64 v32, null, 0, v1, vcc_lo
	v_mov_b32_e32 v15, v7
	v_mov_b32_e32 v9, v1
	v_mov_b32_e32 v8, v0
	v_mov_b32_e32 v14, v6
	v_mov_b32_e32 v13, v5
	v_mov_b32_e32 v12, v4
	v_mov_b32_e32 v11, v3
	v_mov_b32_e32 v10, v2
	v_mov_b32_e32 v8, v31
	v_mov_b32_e32 v9, v32
	s_cbranch_execz .LBB14_49
	s_branch .LBB14_50
.LBB14_48:
                                        ; implicit-def: $vgpr8_vgpr9_vgpr10_vgpr11_vgpr12_vgpr13_vgpr14_vgpr15
.LBB14_49:
	v_mad_u64_u32 v[8:9], null, s14, v30, 0
	v_mad_u64_u32 v[9:10], null, s15, v30, v[9:10]
	v_lshlrev_b64 v[8:9], 1, v[8:9]
	v_add_co_u32 v8, vcc_lo, v18, v8
	v_add_co_ci_u32_e64 v9, null, v29, v9, vcc_lo
	global_load_ushort v8, v[8:9], off
	s_waitcnt vmcnt(0)
	v_cmp_neq_f16_e32 vcc_lo, 0, v8
	v_cndmask_b32_e64 v8, 0, 1, vcc_lo
	v_add_co_u32 v0, vcc_lo, v0, v8
	v_add_co_ci_u32_e64 v1, null, 0, v1, vcc_lo
	v_mov_b32_e32 v15, v7
	v_mov_b32_e32 v14, v6
	v_mov_b32_e32 v13, v5
	v_mov_b32_e32 v12, v4
	v_mov_b32_e32 v11, v3
	v_mov_b32_e32 v10, v2
	v_mov_b32_e32 v9, v1
	v_mov_b32_e32 v8, v0
.LBB14_50:
	v_mov_b32_e32 v0, v8
	v_mov_b32_e32 v1, v9
	v_mov_b32_e32 v2, v10
	v_mov_b32_e32 v3, v11
	v_mov_b32_e32 v4, v12
	v_mov_b32_e32 v5, v13
	v_mov_b32_e32 v6, v14
	v_mov_b32_e32 v7, v15
.LBB14_51:
	;; [unrolled: 59-line block ×3, first 2 shown]
	s_or_b32 exec_lo, exec_lo, s2
	s_or_b32 exec_lo, exec_lo, s0
	s_mov_b32 s0, exec_lo
	v_cmpx_gt_i32_e64 s9, v27
	s_cbranch_execz .LBB14_31
.LBB14_58:
	v_ashrrev_i32_e32 v10, 31, v27
	v_mul_lo_u32 v11, s15, v27
	v_mad_u64_u32 v[8:9], null, s14, v27, 0
	s_mov_b32 s2, exec_lo
	v_mul_lo_u32 v10, s14, v10
	v_add3_u32 v9, v9, v10, v11
	v_lshlrev_b64 v[10:11], 1, v[19:20]
	v_lshlrev_b64 v[8:9], 1, v[8:9]
	v_add_co_u32 v18, vcc_lo, s12, v10
	v_add_co_ci_u32_e64 v27, null, s13, v11, vcc_lo
	v_add_co_u32 v21, vcc_lo, v16, v8
	v_add_co_ci_u32_e64 v22, null, v28, v9, vcc_lo
	v_cmpx_gt_i32_e64 s10, v17
	s_cbranch_execz .LBB14_64
; %bb.59:
	s_andn2_b32 vcc_lo, exec_lo, s1
	s_cbranch_vccnz .LBB14_61
; %bb.60:
	global_load_ushort v8, v[21:22], off
	s_waitcnt vmcnt(0)
	v_cmp_neq_f16_e32 vcc_lo, 0, v8
	v_cndmask_b32_e64 v8, 0, 1, vcc_lo
	v_add_co_u32 v29, vcc_lo, v2, v8
	v_add_co_ci_u32_e64 v30, null, 0, v3, vcc_lo
	v_mov_b32_e32 v15, v7
	v_mov_b32_e32 v11, v3
	v_mov_b32_e32 v10, v2
	v_mov_b32_e32 v14, v6
	v_mov_b32_e32 v13, v5
	v_mov_b32_e32 v12, v4
	v_mov_b32_e32 v9, v1
	v_mov_b32_e32 v8, v0
	v_mov_b32_e32 v10, v29
	v_mov_b32_e32 v11, v30
	s_cbranch_execz .LBB14_62
	s_branch .LBB14_63
.LBB14_61:
                                        ; implicit-def: $vgpr8_vgpr9_vgpr10_vgpr11_vgpr12_vgpr13_vgpr14_vgpr15
.LBB14_62:
	v_mad_u64_u32 v[8:9], null, s14, v17, 0
	v_mad_u64_u32 v[9:10], null, s15, v17, v[9:10]
	v_lshlrev_b64 v[8:9], 1, v[8:9]
	v_add_co_u32 v8, vcc_lo, v18, v8
	v_add_co_ci_u32_e64 v9, null, v27, v9, vcc_lo
	global_load_ushort v8, v[8:9], off offset:128
	s_waitcnt vmcnt(0)
	v_cmp_neq_f16_e32 vcc_lo, 0, v8
	v_cndmask_b32_e64 v8, 0, 1, vcc_lo
	v_add_co_u32 v2, vcc_lo, v2, v8
	v_add_co_ci_u32_e64 v3, null, 0, v3, vcc_lo
	v_mov_b32_e32 v15, v7
	v_mov_b32_e32 v14, v6
	;; [unrolled: 1-line block ×8, first 2 shown]
.LBB14_63:
	v_mov_b32_e32 v0, v8
	v_mov_b32_e32 v1, v9
	;; [unrolled: 1-line block ×8, first 2 shown]
.LBB14_64:
	s_or_b32 exec_lo, exec_lo, s2
	v_or_b32_e32 v29, 1, v17
	s_mov_b32 s2, exec_lo
	v_cmpx_gt_i32_e64 s10, v29
	s_cbranch_execz .LBB14_70
; %bb.65:
	s_andn2_b32 vcc_lo, exec_lo, s1
	s_cbranch_vccnz .LBB14_67
; %bb.66:
	global_load_ushort v8, v[21:22], off offset:2
	s_waitcnt vmcnt(0)
	v_cmp_neq_f16_e32 vcc_lo, 0, v8
	v_cndmask_b32_e64 v8, 0, 1, vcc_lo
	v_add_co_u32 v30, vcc_lo, v2, v8
	v_add_co_ci_u32_e64 v31, null, 0, v3, vcc_lo
	v_mov_b32_e32 v15, v7
	v_mov_b32_e32 v11, v3
	v_mov_b32_e32 v10, v2
	v_mov_b32_e32 v14, v6
	v_mov_b32_e32 v13, v5
	v_mov_b32_e32 v12, v4
	v_mov_b32_e32 v9, v1
	v_mov_b32_e32 v8, v0
	v_mov_b32_e32 v10, v30
	v_mov_b32_e32 v11, v31
	s_cbranch_execz .LBB14_68
	s_branch .LBB14_69
.LBB14_67:
                                        ; implicit-def: $vgpr8_vgpr9_vgpr10_vgpr11_vgpr12_vgpr13_vgpr14_vgpr15
.LBB14_68:
	v_mad_u64_u32 v[8:9], null, s14, v29, 0
	v_mad_u64_u32 v[9:10], null, s15, v29, v[9:10]
	v_lshlrev_b64 v[8:9], 1, v[8:9]
	v_add_co_u32 v8, vcc_lo, v18, v8
	v_add_co_ci_u32_e64 v9, null, v27, v9, vcc_lo
	global_load_ushort v8, v[8:9], off offset:128
	s_waitcnt vmcnt(0)
	v_cmp_neq_f16_e32 vcc_lo, 0, v8
	v_cndmask_b32_e64 v8, 0, 1, vcc_lo
	v_add_co_u32 v2, vcc_lo, v2, v8
	v_add_co_ci_u32_e64 v3, null, 0, v3, vcc_lo
	v_mov_b32_e32 v15, v7
	v_mov_b32_e32 v14, v6
	v_mov_b32_e32 v13, v5
	v_mov_b32_e32 v12, v4
	v_mov_b32_e32 v11, v3
	v_mov_b32_e32 v10, v2
	v_mov_b32_e32 v9, v1
	v_mov_b32_e32 v8, v0
.LBB14_69:
	v_mov_b32_e32 v0, v8
	v_mov_b32_e32 v1, v9
	v_mov_b32_e32 v2, v10
	v_mov_b32_e32 v3, v11
	v_mov_b32_e32 v4, v12
	v_mov_b32_e32 v5, v13
	v_mov_b32_e32 v6, v14
	v_mov_b32_e32 v7, v15
.LBB14_70:
	s_or_b32 exec_lo, exec_lo, s2
	v_or_b32_e32 v29, 2, v17
	s_mov_b32 s2, exec_lo
	v_cmpx_gt_i32_e64 s10, v29
	s_cbranch_execz .LBB14_76
; %bb.71:
	s_andn2_b32 vcc_lo, exec_lo, s1
	s_cbranch_vccnz .LBB14_73
; %bb.72:
	global_load_ushort v8, v[21:22], off offset:4
	s_waitcnt vmcnt(0)
	v_cmp_neq_f16_e32 vcc_lo, 0, v8
	v_cndmask_b32_e64 v8, 0, 1, vcc_lo
	v_add_co_u32 v30, vcc_lo, v2, v8
	v_add_co_ci_u32_e64 v31, null, 0, v3, vcc_lo
	v_mov_b32_e32 v15, v7
	v_mov_b32_e32 v11, v3
	v_mov_b32_e32 v10, v2
	v_mov_b32_e32 v14, v6
	v_mov_b32_e32 v13, v5
	v_mov_b32_e32 v12, v4
	v_mov_b32_e32 v9, v1
	v_mov_b32_e32 v8, v0
	v_mov_b32_e32 v10, v30
	v_mov_b32_e32 v11, v31
	s_cbranch_execz .LBB14_74
	s_branch .LBB14_75
.LBB14_73:
                                        ; implicit-def: $vgpr8_vgpr9_vgpr10_vgpr11_vgpr12_vgpr13_vgpr14_vgpr15
.LBB14_74:
	v_mad_u64_u32 v[8:9], null, s14, v29, 0
	v_mad_u64_u32 v[9:10], null, s15, v29, v[9:10]
	v_lshlrev_b64 v[8:9], 1, v[8:9]
	v_add_co_u32 v8, vcc_lo, v18, v8
	v_add_co_ci_u32_e64 v9, null, v27, v9, vcc_lo
	global_load_ushort v8, v[8:9], off offset:128
	s_waitcnt vmcnt(0)
	v_cmp_neq_f16_e32 vcc_lo, 0, v8
	v_cndmask_b32_e64 v8, 0, 1, vcc_lo
	v_add_co_u32 v2, vcc_lo, v2, v8
	v_add_co_ci_u32_e64 v3, null, 0, v3, vcc_lo
	v_mov_b32_e32 v15, v7
	v_mov_b32_e32 v14, v6
	v_mov_b32_e32 v13, v5
	v_mov_b32_e32 v12, v4
	v_mov_b32_e32 v11, v3
	v_mov_b32_e32 v10, v2
	v_mov_b32_e32 v9, v1
	v_mov_b32_e32 v8, v0
.LBB14_75:
	v_mov_b32_e32 v0, v8
	v_mov_b32_e32 v1, v9
	v_mov_b32_e32 v2, v10
	v_mov_b32_e32 v3, v11
	v_mov_b32_e32 v4, v12
	v_mov_b32_e32 v5, v13
	v_mov_b32_e32 v6, v14
	v_mov_b32_e32 v7, v15
.LBB14_76:
	;; [unrolled: 59-line block ×3, first 2 shown]
	s_or_b32 exec_lo, exec_lo, s2
	s_or_b32 exec_lo, exec_lo, s0
	s_mov_b32 s0, exec_lo
	v_cmpx_gt_i32_e64 s9, v26
	s_cbranch_execz .LBB14_32
.LBB14_83:
	v_ashrrev_i32_e32 v10, 31, v26
	v_mul_lo_u32 v11, s15, v26
	v_mad_u64_u32 v[8:9], null, s14, v26, 0
	s_mov_b32 s2, exec_lo
	v_mul_lo_u32 v10, s14, v10
	v_add3_u32 v9, v9, v10, v11
	v_lshlrev_b64 v[10:11], 1, v[19:20]
	v_lshlrev_b64 v[8:9], 1, v[8:9]
	v_add_co_u32 v18, vcc_lo, s12, v10
	v_add_co_ci_u32_e64 v26, null, s13, v11, vcc_lo
	v_add_co_u32 v21, vcc_lo, v16, v8
	v_add_co_ci_u32_e64 v22, null, v28, v9, vcc_lo
	v_cmpx_gt_i32_e64 s10, v17
	s_cbranch_execz .LBB14_89
; %bb.84:
	s_andn2_b32 vcc_lo, exec_lo, s1
	s_cbranch_vccnz .LBB14_86
; %bb.85:
	global_load_ushort v8, v[21:22], off
	s_waitcnt vmcnt(0)
	v_cmp_neq_f16_e32 vcc_lo, 0, v8
	v_cndmask_b32_e64 v8, 0, 1, vcc_lo
	v_add_co_u32 v27, vcc_lo, v4, v8
	v_add_co_ci_u32_e64 v29, null, 0, v5, vcc_lo
	v_mov_b32_e32 v15, v7
	v_mov_b32_e32 v13, v5
	;; [unrolled: 1-line block ×10, first 2 shown]
	s_cbranch_execz .LBB14_87
	s_branch .LBB14_88
.LBB14_86:
                                        ; implicit-def: $vgpr8_vgpr9_vgpr10_vgpr11_vgpr12_vgpr13_vgpr14_vgpr15
.LBB14_87:
	v_mad_u64_u32 v[8:9], null, s14, v17, 0
	v_mad_u64_u32 v[9:10], null, s15, v17, v[9:10]
	v_lshlrev_b64 v[8:9], 1, v[8:9]
	v_add_co_u32 v8, vcc_lo, v18, v8
	v_add_co_ci_u32_e64 v9, null, v26, v9, vcc_lo
	global_load_ushort v8, v[8:9], off offset:256
	s_waitcnt vmcnt(0)
	v_cmp_neq_f16_e32 vcc_lo, 0, v8
	v_cndmask_b32_e64 v8, 0, 1, vcc_lo
	v_add_co_u32 v4, vcc_lo, v4, v8
	v_add_co_ci_u32_e64 v5, null, 0, v5, vcc_lo
	v_mov_b32_e32 v15, v7
	v_mov_b32_e32 v14, v6
	;; [unrolled: 1-line block ×8, first 2 shown]
.LBB14_88:
	v_mov_b32_e32 v0, v8
	v_mov_b32_e32 v1, v9
	;; [unrolled: 1-line block ×8, first 2 shown]
.LBB14_89:
	s_or_b32 exec_lo, exec_lo, s2
	v_or_b32_e32 v27, 1, v17
	s_mov_b32 s2, exec_lo
	v_cmpx_gt_i32_e64 s10, v27
	s_cbranch_execz .LBB14_95
; %bb.90:
	s_andn2_b32 vcc_lo, exec_lo, s1
	s_cbranch_vccnz .LBB14_92
; %bb.91:
	global_load_ushort v8, v[21:22], off offset:2
	s_waitcnt vmcnt(0)
	v_cmp_neq_f16_e32 vcc_lo, 0, v8
	v_cndmask_b32_e64 v8, 0, 1, vcc_lo
	v_add_co_u32 v29, vcc_lo, v4, v8
	v_add_co_ci_u32_e64 v30, null, 0, v5, vcc_lo
	v_mov_b32_e32 v15, v7
	v_mov_b32_e32 v13, v5
	v_mov_b32_e32 v12, v4
	v_mov_b32_e32 v14, v6
	v_mov_b32_e32 v11, v3
	v_mov_b32_e32 v10, v2
	v_mov_b32_e32 v9, v1
	v_mov_b32_e32 v8, v0
	v_mov_b32_e32 v12, v29
	v_mov_b32_e32 v13, v30
	s_cbranch_execz .LBB14_93
	s_branch .LBB14_94
.LBB14_92:
                                        ; implicit-def: $vgpr8_vgpr9_vgpr10_vgpr11_vgpr12_vgpr13_vgpr14_vgpr15
.LBB14_93:
	v_mad_u64_u32 v[8:9], null, s14, v27, 0
	v_mad_u64_u32 v[9:10], null, s15, v27, v[9:10]
	v_lshlrev_b64 v[8:9], 1, v[8:9]
	v_add_co_u32 v8, vcc_lo, v18, v8
	v_add_co_ci_u32_e64 v9, null, v26, v9, vcc_lo
	global_load_ushort v8, v[8:9], off offset:256
	s_waitcnt vmcnt(0)
	v_cmp_neq_f16_e32 vcc_lo, 0, v8
	v_cndmask_b32_e64 v8, 0, 1, vcc_lo
	v_add_co_u32 v4, vcc_lo, v4, v8
	v_add_co_ci_u32_e64 v5, null, 0, v5, vcc_lo
	v_mov_b32_e32 v15, v7
	v_mov_b32_e32 v14, v6
	v_mov_b32_e32 v12, v4
	v_mov_b32_e32 v13, v5
	v_mov_b32_e32 v11, v3
	v_mov_b32_e32 v10, v2
	v_mov_b32_e32 v9, v1
	v_mov_b32_e32 v8, v0
.LBB14_94:
	v_mov_b32_e32 v0, v8
	v_mov_b32_e32 v1, v9
	v_mov_b32_e32 v2, v10
	v_mov_b32_e32 v3, v11
	v_mov_b32_e32 v4, v12
	v_mov_b32_e32 v5, v13
	v_mov_b32_e32 v6, v14
	v_mov_b32_e32 v7, v15
.LBB14_95:
	s_or_b32 exec_lo, exec_lo, s2
	v_or_b32_e32 v27, 2, v17
	s_mov_b32 s2, exec_lo
	v_cmpx_gt_i32_e64 s10, v27
	s_cbranch_execz .LBB14_101
; %bb.96:
	s_andn2_b32 vcc_lo, exec_lo, s1
	s_cbranch_vccnz .LBB14_98
; %bb.97:
	global_load_ushort v8, v[21:22], off offset:4
	s_waitcnt vmcnt(0)
	v_cmp_neq_f16_e32 vcc_lo, 0, v8
	v_cndmask_b32_e64 v8, 0, 1, vcc_lo
	v_add_co_u32 v29, vcc_lo, v4, v8
	v_add_co_ci_u32_e64 v30, null, 0, v5, vcc_lo
	v_mov_b32_e32 v15, v7
	v_mov_b32_e32 v13, v5
	v_mov_b32_e32 v12, v4
	v_mov_b32_e32 v14, v6
	v_mov_b32_e32 v11, v3
	v_mov_b32_e32 v10, v2
	v_mov_b32_e32 v9, v1
	v_mov_b32_e32 v8, v0
	v_mov_b32_e32 v12, v29
	v_mov_b32_e32 v13, v30
	s_cbranch_execz .LBB14_99
	s_branch .LBB14_100
.LBB14_98:
                                        ; implicit-def: $vgpr8_vgpr9_vgpr10_vgpr11_vgpr12_vgpr13_vgpr14_vgpr15
.LBB14_99:
	v_mad_u64_u32 v[8:9], null, s14, v27, 0
	v_mad_u64_u32 v[9:10], null, s15, v27, v[9:10]
	v_lshlrev_b64 v[8:9], 1, v[8:9]
	v_add_co_u32 v8, vcc_lo, v18, v8
	v_add_co_ci_u32_e64 v9, null, v26, v9, vcc_lo
	global_load_ushort v8, v[8:9], off offset:256
	s_waitcnt vmcnt(0)
	v_cmp_neq_f16_e32 vcc_lo, 0, v8
	v_cndmask_b32_e64 v8, 0, 1, vcc_lo
	v_add_co_u32 v4, vcc_lo, v4, v8
	v_add_co_ci_u32_e64 v5, null, 0, v5, vcc_lo
	v_mov_b32_e32 v15, v7
	v_mov_b32_e32 v14, v6
	v_mov_b32_e32 v12, v4
	v_mov_b32_e32 v13, v5
	v_mov_b32_e32 v11, v3
	v_mov_b32_e32 v10, v2
	v_mov_b32_e32 v9, v1
	v_mov_b32_e32 v8, v0
.LBB14_100:
	v_mov_b32_e32 v0, v8
	v_mov_b32_e32 v1, v9
	v_mov_b32_e32 v2, v10
	v_mov_b32_e32 v3, v11
	v_mov_b32_e32 v4, v12
	v_mov_b32_e32 v5, v13
	v_mov_b32_e32 v6, v14
	v_mov_b32_e32 v7, v15
.LBB14_101:
	;; [unrolled: 59-line block ×3, first 2 shown]
	s_or_b32 exec_lo, exec_lo, s2
	s_or_b32 exec_lo, exec_lo, s0
	s_mov_b32 s2, exec_lo
	v_cmpx_gt_i32_e64 s9, v25
	s_cbranch_execz .LBB14_133
.LBB14_108:
	v_ashrrev_i32_e32 v10, 31, v25
	v_mul_lo_u32 v11, s15, v25
	v_mad_u64_u32 v[8:9], null, s14, v25, 0
	v_mul_lo_u32 v10, s14, v10
	v_add3_u32 v9, v9, v10, v11
	v_lshlrev_b64 v[10:11], 1, v[19:20]
	v_lshlrev_b64 v[8:9], 1, v[8:9]
	v_add_co_u32 v20, s0, s12, v10
	v_add_co_ci_u32_e64 v21, null, s13, v11, s0
	v_add_co_u32 v18, s0, v16, v8
	v_add_co_ci_u32_e64 v19, null, v28, v9, s0
	v_cndmask_b32_e64 v16, 0, 1, s1
	s_mov_b32 s0, exec_lo
	v_cmpx_gt_i32_e64 s10, v17
	s_cbranch_execz .LBB14_114
; %bb.109:
	s_andn2_b32 vcc_lo, exec_lo, s1
	s_cbranch_vccnz .LBB14_111
; %bb.110:
	global_load_ushort v8, v[18:19], off
	s_waitcnt vmcnt(0)
	v_cmp_neq_f16_e32 vcc_lo, 0, v8
	v_cndmask_b32_e64 v8, 0, 1, vcc_lo
	v_add_co_u32 v22, vcc_lo, v6, v8
	v_add_co_ci_u32_e64 v25, null, 0, v7, vcc_lo
	v_mov_b32_e32 v15, v7
	v_mov_b32_e32 v14, v6
	;; [unrolled: 1-line block ×10, first 2 shown]
	s_cbranch_execz .LBB14_112
	s_branch .LBB14_113
.LBB14_111:
                                        ; implicit-def: $vgpr8_vgpr9_vgpr10_vgpr11_vgpr12_vgpr13_vgpr14_vgpr15
.LBB14_112:
	v_mad_u64_u32 v[8:9], null, s14, v17, 0
	v_mad_u64_u32 v[9:10], null, s15, v17, v[9:10]
	v_lshlrev_b64 v[8:9], 1, v[8:9]
	v_add_co_u32 v8, vcc_lo, v20, v8
	v_add_co_ci_u32_e64 v9, null, v21, v9, vcc_lo
	global_load_ushort v8, v[8:9], off offset:384
	s_waitcnt vmcnt(0)
	v_cmp_neq_f16_e32 vcc_lo, 0, v8
	v_cndmask_b32_e64 v8, 0, 1, vcc_lo
	v_add_co_u32 v6, vcc_lo, v6, v8
	v_add_co_ci_u32_e64 v7, null, 0, v7, vcc_lo
	v_mov_b32_e32 v15, v7
	v_mov_b32_e32 v14, v6
	;; [unrolled: 1-line block ×8, first 2 shown]
.LBB14_113:
	v_mov_b32_e32 v0, v8
	v_mov_b32_e32 v1, v9
	;; [unrolled: 1-line block ×8, first 2 shown]
.LBB14_114:
	s_or_b32 exec_lo, exec_lo, s0
	v_or_b32_e32 v22, 1, v17
	s_mov_b32 s0, exec_lo
	v_cmpx_gt_i32_e64 s10, v22
	s_cbranch_execz .LBB14_120
; %bb.115:
	v_cmp_ne_u32_e32 vcc_lo, 1, v16
	s_cbranch_vccnz .LBB14_117
; %bb.116:
	global_load_ushort v8, v[18:19], off offset:2
	s_waitcnt vmcnt(0)
	v_cmp_neq_f16_e32 vcc_lo, 0, v8
	v_cndmask_b32_e64 v8, 0, 1, vcc_lo
	v_add_co_u32 v25, vcc_lo, v6, v8
	v_add_co_ci_u32_e64 v26, null, 0, v7, vcc_lo
	v_mov_b32_e32 v15, v7
	v_mov_b32_e32 v14, v6
	v_mov_b32_e32 v13, v5
	v_mov_b32_e32 v12, v4
	v_mov_b32_e32 v11, v3
	v_mov_b32_e32 v10, v2
	v_mov_b32_e32 v9, v1
	v_mov_b32_e32 v8, v0
	v_mov_b32_e32 v14, v25
	v_mov_b32_e32 v15, v26
	s_cbranch_execz .LBB14_118
	s_branch .LBB14_119
.LBB14_117:
                                        ; implicit-def: $vgpr8_vgpr9_vgpr10_vgpr11_vgpr12_vgpr13_vgpr14_vgpr15
.LBB14_118:
	v_mad_u64_u32 v[8:9], null, s14, v22, 0
	v_mad_u64_u32 v[9:10], null, s15, v22, v[9:10]
	v_lshlrev_b64 v[8:9], 1, v[8:9]
	v_add_co_u32 v8, vcc_lo, v20, v8
	v_add_co_ci_u32_e64 v9, null, v21, v9, vcc_lo
	global_load_ushort v8, v[8:9], off offset:384
	s_waitcnt vmcnt(0)
	v_cmp_neq_f16_e32 vcc_lo, 0, v8
	v_cndmask_b32_e64 v8, 0, 1, vcc_lo
	v_add_co_u32 v6, vcc_lo, v6, v8
	v_add_co_ci_u32_e64 v7, null, 0, v7, vcc_lo
	v_mov_b32_e32 v15, v7
	v_mov_b32_e32 v14, v6
	v_mov_b32_e32 v13, v5
	v_mov_b32_e32 v12, v4
	v_mov_b32_e32 v11, v3
	v_mov_b32_e32 v10, v2
	v_mov_b32_e32 v9, v1
	v_mov_b32_e32 v8, v0
.LBB14_119:
	v_mov_b32_e32 v0, v8
	v_mov_b32_e32 v1, v9
	v_mov_b32_e32 v2, v10
	v_mov_b32_e32 v3, v11
	v_mov_b32_e32 v4, v12
	v_mov_b32_e32 v5, v13
	v_mov_b32_e32 v6, v14
	v_mov_b32_e32 v7, v15
.LBB14_120:
	s_or_b32 exec_lo, exec_lo, s0
	v_or_b32_e32 v22, 2, v17
	s_mov_b32 s0, exec_lo
	v_cmpx_gt_i32_e64 s10, v22
	s_cbranch_execz .LBB14_126
; %bb.121:
	v_cmp_ne_u32_e32 vcc_lo, 1, v16
	s_cbranch_vccnz .LBB14_123
; %bb.122:
	global_load_ushort v8, v[18:19], off offset:4
	s_waitcnt vmcnt(0)
	v_cmp_neq_f16_e32 vcc_lo, 0, v8
	v_cndmask_b32_e64 v8, 0, 1, vcc_lo
	v_add_co_u32 v25, vcc_lo, v6, v8
	v_add_co_ci_u32_e64 v26, null, 0, v7, vcc_lo
	v_mov_b32_e32 v15, v7
	v_mov_b32_e32 v14, v6
	v_mov_b32_e32 v13, v5
	v_mov_b32_e32 v12, v4
	v_mov_b32_e32 v11, v3
	v_mov_b32_e32 v10, v2
	v_mov_b32_e32 v9, v1
	v_mov_b32_e32 v8, v0
	v_mov_b32_e32 v14, v25
	v_mov_b32_e32 v15, v26
	s_cbranch_execz .LBB14_124
	s_branch .LBB14_125
.LBB14_123:
                                        ; implicit-def: $vgpr8_vgpr9_vgpr10_vgpr11_vgpr12_vgpr13_vgpr14_vgpr15
.LBB14_124:
	v_mad_u64_u32 v[8:9], null, s14, v22, 0
	v_mad_u64_u32 v[9:10], null, s15, v22, v[9:10]
	v_lshlrev_b64 v[8:9], 1, v[8:9]
	v_add_co_u32 v8, vcc_lo, v20, v8
	v_add_co_ci_u32_e64 v9, null, v21, v9, vcc_lo
	global_load_ushort v8, v[8:9], off offset:384
	s_waitcnt vmcnt(0)
	v_cmp_neq_f16_e32 vcc_lo, 0, v8
	v_cndmask_b32_e64 v8, 0, 1, vcc_lo
	v_add_co_u32 v6, vcc_lo, v6, v8
	v_add_co_ci_u32_e64 v7, null, 0, v7, vcc_lo
	v_mov_b32_e32 v15, v7
	v_mov_b32_e32 v14, v6
	v_mov_b32_e32 v13, v5
	v_mov_b32_e32 v12, v4
	v_mov_b32_e32 v11, v3
	v_mov_b32_e32 v10, v2
	v_mov_b32_e32 v9, v1
	v_mov_b32_e32 v8, v0
.LBB14_125:
	v_mov_b32_e32 v0, v8
	v_mov_b32_e32 v1, v9
	v_mov_b32_e32 v2, v10
	v_mov_b32_e32 v3, v11
	v_mov_b32_e32 v4, v12
	v_mov_b32_e32 v5, v13
	v_mov_b32_e32 v6, v14
	v_mov_b32_e32 v7, v15
.LBB14_126:
	;; [unrolled: 59-line block ×3, first 2 shown]
	s_or_b32 exec_lo, exec_lo, s0
.LBB14_133:
	s_or_b32 exec_lo, exec_lo, s2
.LBB14_134:
	v_lshlrev_b32_e32 v8, 5, v23
	v_lshlrev_b32_e32 v9, 3, v24
	s_mov_b32 s0, exec_lo
	v_and_or_b32 v8, 0xfffff800, v8, v9
	ds_write2st64_b64 v8, v[0:1], v[2:3] offset1:1
	ds_write2st64_b64 v8, v[4:5], v[6:7] offset0:2 offset1:3
	s_waitcnt lgkmcnt(0)
	s_barrier
	buffer_gl0_inv
	v_cmpx_gt_u32_e32 0x100, v23
	s_cbranch_execz .LBB14_137
; %bb.135:
	v_lshlrev_b32_e32 v12, 3, v23
	ds_read2st64_b64 v[0:3], v12 offset1:4
	ds_read2st64_b64 v[4:7], v12 offset0:8 offset1:12
	ds_read2st64_b64 v[8:11], v12 offset0:16 offset1:20
	s_waitcnt lgkmcnt(2)
	v_add_co_u32 v13, vcc_lo, v0, v2
	v_add_co_ci_u32_e64 v14, null, v1, v3, vcc_lo
	ds_read2st64_b64 v[0:3], v12 offset0:24 offset1:28
	s_waitcnt lgkmcnt(2)
	v_add_co_u32 v4, vcc_lo, v13, v4
	v_add_co_ci_u32_e64 v5, null, v14, v5, vcc_lo
	v_add_co_u32 v13, vcc_lo, v4, v6
	v_add_co_ci_u32_e64 v14, null, v5, v7, vcc_lo
	ds_read2st64_b64 v[4:7], v12 offset0:32 offset1:36
	s_waitcnt lgkmcnt(2)
	v_add_co_u32 v8, vcc_lo, v13, v8
	v_add_co_ci_u32_e64 v9, null, v14, v9, vcc_lo
	;; [unrolled: 6-line block ×5, first 2 shown]
	v_add_co_u32 v8, vcc_lo, v8, v10
	v_add_co_ci_u32_e64 v9, null, v9, v11, vcc_lo
	s_waitcnt lgkmcnt(1)
	v_add_co_u32 v0, vcc_lo, v8, v0
	v_add_co_ci_u32_e64 v1, null, v9, v1, vcc_lo
	v_add_co_u32 v0, vcc_lo, v0, v2
	v_add_co_ci_u32_e64 v1, null, v1, v3, vcc_lo
	v_add_nc_u32_e32 v2, s5, v23
	s_waitcnt lgkmcnt(0)
	v_add_co_u32 v0, vcc_lo, v0, v4
	v_add_co_ci_u32_e64 v1, null, v1, v5, vcc_lo
	v_add_co_u32 v0, vcc_lo, v0, v6
	v_add_co_ci_u32_e64 v1, null, v1, v7, vcc_lo
	v_cmp_gt_i32_e32 vcc_lo, s9, v2
	ds_write_b64 v12, v[0:1]
	s_and_b32 exec_lo, exec_lo, vcc_lo
	s_cbranch_execz .LBB14_137
; %bb.136:
	v_ashrrev_i32_e32 v3, 31, v2
	v_lshlrev_b64 v[2:3], 3, v[2:3]
	v_add_co_u32 v2, vcc_lo, s16, v2
	v_add_co_ci_u32_e64 v3, null, s17, v3, vcc_lo
	global_store_dwordx2 v[2:3], v[0:1], off
.LBB14_137:
	s_endpgm
	.section	.rodata,"a",@progbits
	.p2align	6, 0x0
	.amdhsa_kernel _ZN9rocsparseL14nnz_kernel_rowILi64ELi16EliDF16_EEv16rocsparse_order_T2_S2_PKT3_lPT1_
		.amdhsa_group_segment_fixed_size 32768
		.amdhsa_private_segment_fixed_size 0
		.amdhsa_kernarg_size 296
		.amdhsa_user_sgpr_count 6
		.amdhsa_user_sgpr_private_segment_buffer 1
		.amdhsa_user_sgpr_dispatch_ptr 0
		.amdhsa_user_sgpr_queue_ptr 0
		.amdhsa_user_sgpr_kernarg_segment_ptr 1
		.amdhsa_user_sgpr_dispatch_id 0
		.amdhsa_user_sgpr_flat_scratch_init 0
		.amdhsa_user_sgpr_private_segment_size 0
		.amdhsa_wavefront_size32 1
		.amdhsa_uses_dynamic_stack 0
		.amdhsa_system_sgpr_private_segment_wavefront_offset 0
		.amdhsa_system_sgpr_workgroup_id_x 1
		.amdhsa_system_sgpr_workgroup_id_y 0
		.amdhsa_system_sgpr_workgroup_id_z 0
		.amdhsa_system_sgpr_workgroup_info 0
		.amdhsa_system_vgpr_workitem_id 1
		.amdhsa_next_free_vgpr 42
		.amdhsa_next_free_sgpr 22
		.amdhsa_reserve_vcc 1
		.amdhsa_reserve_flat_scratch 0
		.amdhsa_float_round_mode_32 0
		.amdhsa_float_round_mode_16_64 0
		.amdhsa_float_denorm_mode_32 3
		.amdhsa_float_denorm_mode_16_64 3
		.amdhsa_dx10_clamp 1
		.amdhsa_ieee_mode 1
		.amdhsa_fp16_overflow 0
		.amdhsa_workgroup_processor_mode 1
		.amdhsa_memory_ordered 1
		.amdhsa_forward_progress 1
		.amdhsa_shared_vgpr_count 0
		.amdhsa_exception_fp_ieee_invalid_op 0
		.amdhsa_exception_fp_denorm_src 0
		.amdhsa_exception_fp_ieee_div_zero 0
		.amdhsa_exception_fp_ieee_overflow 0
		.amdhsa_exception_fp_ieee_underflow 0
		.amdhsa_exception_fp_ieee_inexact 0
		.amdhsa_exception_int_div_zero 0
	.end_amdhsa_kernel
	.section	.text._ZN9rocsparseL14nnz_kernel_rowILi64ELi16EliDF16_EEv16rocsparse_order_T2_S2_PKT3_lPT1_,"axG",@progbits,_ZN9rocsparseL14nnz_kernel_rowILi64ELi16EliDF16_EEv16rocsparse_order_T2_S2_PKT3_lPT1_,comdat
.Lfunc_end14:
	.size	_ZN9rocsparseL14nnz_kernel_rowILi64ELi16EliDF16_EEv16rocsparse_order_T2_S2_PKT3_lPT1_, .Lfunc_end14-_ZN9rocsparseL14nnz_kernel_rowILi64ELi16EliDF16_EEv16rocsparse_order_T2_S2_PKT3_lPT1_
                                        ; -- End function
	.set _ZN9rocsparseL14nnz_kernel_rowILi64ELi16EliDF16_EEv16rocsparse_order_T2_S2_PKT3_lPT1_.num_vgpr, 42
	.set _ZN9rocsparseL14nnz_kernel_rowILi64ELi16EliDF16_EEv16rocsparse_order_T2_S2_PKT3_lPT1_.num_agpr, 0
	.set _ZN9rocsparseL14nnz_kernel_rowILi64ELi16EliDF16_EEv16rocsparse_order_T2_S2_PKT3_lPT1_.numbered_sgpr, 22
	.set _ZN9rocsparseL14nnz_kernel_rowILi64ELi16EliDF16_EEv16rocsparse_order_T2_S2_PKT3_lPT1_.num_named_barrier, 0
	.set _ZN9rocsparseL14nnz_kernel_rowILi64ELi16EliDF16_EEv16rocsparse_order_T2_S2_PKT3_lPT1_.private_seg_size, 0
	.set _ZN9rocsparseL14nnz_kernel_rowILi64ELi16EliDF16_EEv16rocsparse_order_T2_S2_PKT3_lPT1_.uses_vcc, 1
	.set _ZN9rocsparseL14nnz_kernel_rowILi64ELi16EliDF16_EEv16rocsparse_order_T2_S2_PKT3_lPT1_.uses_flat_scratch, 0
	.set _ZN9rocsparseL14nnz_kernel_rowILi64ELi16EliDF16_EEv16rocsparse_order_T2_S2_PKT3_lPT1_.has_dyn_sized_stack, 0
	.set _ZN9rocsparseL14nnz_kernel_rowILi64ELi16EliDF16_EEv16rocsparse_order_T2_S2_PKT3_lPT1_.has_recursion, 0
	.set _ZN9rocsparseL14nnz_kernel_rowILi64ELi16EliDF16_EEv16rocsparse_order_T2_S2_PKT3_lPT1_.has_indirect_call, 0
	.section	.AMDGPU.csdata,"",@progbits
; Kernel info:
; codeLenInByte = 8196
; TotalNumSgprs: 24
; NumVgprs: 42
; ScratchSize: 0
; MemoryBound: 0
; FloatMode: 240
; IeeeMode: 1
; LDSByteSize: 32768 bytes/workgroup (compile time only)
; SGPRBlocks: 0
; VGPRBlocks: 5
; NumSGPRsForWavesPerEU: 24
; NumVGPRsForWavesPerEU: 42
; Occupancy: 16
; WaveLimiterHint : 0
; COMPUTE_PGM_RSRC2:SCRATCH_EN: 0
; COMPUTE_PGM_RSRC2:USER_SGPR: 6
; COMPUTE_PGM_RSRC2:TRAP_HANDLER: 0
; COMPUTE_PGM_RSRC2:TGID_X_EN: 1
; COMPUTE_PGM_RSRC2:TGID_Y_EN: 0
; COMPUTE_PGM_RSRC2:TGID_Z_EN: 0
; COMPUTE_PGM_RSRC2:TIDIG_COMP_CNT: 1
	.section	.text._ZN9rocsparseL14nnz_kernel_colILi256EliDF16_EEv16rocsparse_order_T1_S2_PKT2_lPT0_,"axG",@progbits,_ZN9rocsparseL14nnz_kernel_colILi256EliDF16_EEv16rocsparse_order_T1_S2_PKT2_lPT0_,comdat
	.globl	_ZN9rocsparseL14nnz_kernel_colILi256EliDF16_EEv16rocsparse_order_T1_S2_PKT2_lPT0_ ; -- Begin function _ZN9rocsparseL14nnz_kernel_colILi256EliDF16_EEv16rocsparse_order_T1_S2_PKT2_lPT0_
	.p2align	8
	.type	_ZN9rocsparseL14nnz_kernel_colILi256EliDF16_EEv16rocsparse_order_T1_S2_PKT2_lPT0_,@function
_ZN9rocsparseL14nnz_kernel_colILi256EliDF16_EEv16rocsparse_order_T1_S2_PKT2_lPT0_: ; @_ZN9rocsparseL14nnz_kernel_colILi256EliDF16_EEv16rocsparse_order_T1_S2_PKT2_lPT0_
; %bb.0:
	s_clause 0x1
	s_load_dwordx2 s[8:9], s[4:5], 0x0
	s_load_dwordx4 s[0:3], s[4:5], 0x10
	s_waitcnt lgkmcnt(0)
	s_ashr_i32 s7, s9, 31
	s_lshr_b32 s7, s7, 24
	s_add_i32 s7, s9, s7
	s_and_b32 s10, s7, 0xffffff00
	s_cmp_eq_u32 s8, 1
	s_cbranch_scc1 .LBB15_6
; %bb.1:
	v_mov_b32_e32 v1, 0
	v_mov_b32_e32 v2, 0
	s_cmpk_lt_i32 s9, 0x100
	s_cbranch_scc1 .LBB15_7
; %bb.2:
	v_mad_u64_u32 v[1:2], null, s2, v0, 0
	s_ashr_i32 s7, s6, 31
	s_lshl_b64 s[12:13], s[6:7], 1
	s_add_u32 s7, s0, s12
	s_addc_u32 s8, s1, s13
	v_mad_u64_u32 v[2:3], null, s3, v0, v[2:3]
	s_lshl_b64 s[12:13], s[2:3], 9
	v_lshlrev_b64 v[3:4], 1, v[1:2]
	v_mov_b32_e32 v1, 0
	v_mov_b32_e32 v2, 0
	v_add_co_u32 v3, vcc_lo, s7, v3
	v_add_co_ci_u32_e64 v4, null, s8, v4, vcc_lo
	s_mov_b32 s7, 0
	s_branch .LBB15_4
	.p2align	6
.LBB15_3:                               ;   in Loop: Header=BB15_4 Depth=1
	s_or_b32 exec_lo, exec_lo, s8
	v_add_co_u32 v3, vcc_lo, v3, s12
	v_add_co_ci_u32_e64 v4, null, s13, v4, vcc_lo
	s_addk_i32 s7, 0x100
	s_cmp_ge_i32 s7, s10
	s_cbranch_scc1 .LBB15_7
.LBB15_4:                               ; =>This Inner Loop Header: Depth=1
	v_add_nc_u32_e32 v5, s7, v0
	s_mov_b32 s8, exec_lo
	v_cmpx_gt_i32_e64 s9, v5
	s_cbranch_execz .LBB15_3
; %bb.5:                                ;   in Loop: Header=BB15_4 Depth=1
	global_load_ushort v5, v[3:4], off
	s_waitcnt vmcnt(0)
	v_cmp_neq_f16_e32 vcc_lo, 0, v5
	v_cndmask_b32_e64 v5, 0, 1, vcc_lo
	v_add_co_u32 v1, vcc_lo, v1, v5
	v_add_co_ci_u32_e64 v2, null, 0, v2, vcc_lo
	s_branch .LBB15_3
.LBB15_6:
                                        ; implicit-def: $vgpr1_vgpr2
	s_load_dwordx2 s[4:5], s[4:5], 0x20
	s_cbranch_execnz .LBB15_10
	s_branch .LBB15_16
.LBB15_7:
	v_add_nc_u32_e32 v3, s10, v0
	s_mov_b32 s8, exec_lo
	v_cmpx_gt_i32_e64 s9, v3
	s_cbranch_execz .LBB15_9
; %bb.8:
	v_ashrrev_i32_e32 v5, 31, v3
	v_mul_lo_u32 v6, s3, v3
	v_mad_u64_u32 v[3:4], null, s2, v3, 0
	s_ashr_i32 s7, s6, 31
	v_mul_lo_u32 v5, s2, v5
	s_lshl_b64 s[12:13], s[6:7], 1
	v_add3_u32 v4, v4, v5, v6
	v_lshlrev_b64 v[3:4], 1, v[3:4]
	v_add_co_u32 v3, vcc_lo, s0, v3
	v_add_co_ci_u32_e64 v4, null, s1, v4, vcc_lo
	v_add_co_u32 v3, vcc_lo, v3, s12
	v_add_co_ci_u32_e64 v4, null, s13, v4, vcc_lo
	global_load_ushort v3, v[3:4], off
	s_waitcnt vmcnt(0)
	v_cmp_neq_f16_e32 vcc_lo, 0, v3
	v_cndmask_b32_e64 v3, 0, 1, vcc_lo
	v_add_co_u32 v1, vcc_lo, v1, v3
	v_add_co_ci_u32_e64 v2, null, 0, v2, vcc_lo
.LBB15_9:
	s_or_b32 exec_lo, exec_lo, s8
	s_load_dwordx2 s[4:5], s[4:5], 0x20
	s_branch .LBB15_16
.LBB15_10:
	v_cmp_gt_i32_e32 vcc_lo, s9, v0
	s_ashr_i32 s7, s6, 31
	s_mul_hi_u32 s8, s2, s6
	s_mul_i32 s7, s2, s7
	s_mul_i32 s3, s3, s6
	v_cndmask_b32_e32 v1, 0, v0, vcc_lo
	s_add_i32 s7, s8, s7
	s_mul_i32 s2, s2, s6
	s_add_i32 s3, s7, s3
	s_lshl_b64 s[2:3], s[2:3], 1
	v_lshlrev_b32_e32 v3, 1, v1
	s_add_u32 s0, s0, s2
	s_addc_u32 s1, s1, s3
	v_mov_b32_e32 v1, 0
	v_mov_b32_e32 v2, 0
	v_add_co_u32 v3, s0, s0, v3
	v_add_co_ci_u32_e64 v4, null, s1, 0, s0
	s_cmpk_lt_i32 s9, 0x100
	s_mov_b32 s1, 0
	s_cbranch_scc1 .LBB15_13
; %bb.11:
	v_mov_b32_e32 v1, 0
	v_mov_b32_e32 v6, v4
	;; [unrolled: 1-line block ×4, first 2 shown]
	.p2align	6
.LBB15_12:                              ; =>This Inner Loop Header: Depth=1
	global_load_ushort v7, v[5:6], off
	v_add_co_u32 v5, vcc_lo, 0x200, v5
	v_add_co_ci_u32_e64 v6, null, 0, v6, vcc_lo
	s_addk_i32 s1, 0x100
	s_cmp_ge_i32 s1, s10
	s_waitcnt vmcnt(0)
	v_cmp_neq_f16_e64 s0, 0, v7
	v_cndmask_b32_e64 v7, 0, 1, s0
	v_add_co_u32 v1, vcc_lo, v1, v7
	v_add_co_ci_u32_e64 v2, null, 0, v2, vcc_lo
	s_cbranch_scc0 .LBB15_12
.LBB15_13:
	v_add_nc_u32_e32 v5, s10, v0
	s_mov_b32 s0, exec_lo
	v_cmpx_gt_i32_e64 s9, v5
	s_cbranch_execz .LBB15_15
; %bb.14:
	s_ashr_i32 s11, s10, 31
	s_lshl_b64 s[2:3], s[10:11], 1
	v_add_co_u32 v3, vcc_lo, v3, s2
	v_add_co_ci_u32_e64 v4, null, s3, v4, vcc_lo
	global_load_ushort v3, v[3:4], off
	s_waitcnt vmcnt(0)
	v_cmp_neq_f16_e32 vcc_lo, 0, v3
	v_cndmask_b32_e64 v3, 0, 1, vcc_lo
	v_add_co_u32 v1, vcc_lo, v1, v3
	v_add_co_ci_u32_e64 v2, null, 0, v2, vcc_lo
.LBB15_15:
	s_or_b32 exec_lo, exec_lo, s0
.LBB15_16:
	v_lshlrev_b32_e32 v3, 3, v0
	s_cmpk_lt_i32 s9, 0x100
	s_mov_b32 s0, -1
	v_cmp_eq_u32_e32 vcc_lo, 0, v0
	ds_write_b64 v3, v[1:2]
	s_waitcnt lgkmcnt(0)
	s_cbranch_scc0 .LBB15_27
; %bb.17:
	s_cmp_gt_i32 s9, 1
	s_mov_b32 s2, 1
	s_cselect_b32 s0, -1, 0
	s_barrier
	s_and_b32 s1, vcc_lo, s0
	buffer_gl0_inv
	s_and_saveexec_b32 s0, s1
	s_cbranch_execz .LBB15_26
; %bb.18:
	v_mov_b32_e32 v1, 0
	s_add_i32 s3, s9, -2
	s_add_i32 s1, s9, -1
	s_cmp_lt_u32 s3, 7
	ds_read_b64 v[1:2], v1
	s_cbranch_scc1 .LBB15_22
; %bb.19:
	s_and_b32 s2, s1, -8
	s_mov_b32 s7, 0
	s_mov_b32 s3, 8
	s_inst_prefetch 0x1
	.p2align	6
.LBB15_20:                              ; =>This Inner Loop Header: Depth=1
	v_mov_b32_e32 v16, s3
	s_mov_b32 s8, s7
	s_add_i32 s7, s7, 8
	s_add_i32 s3, s3, 64
	s_cmp_lg_u32 s2, s7
	ds_read2_b64 v[4:7], v16 offset1:1
	ds_read2_b64 v[8:11], v16 offset0:2 offset1:3
	ds_read2_b64 v[12:15], v16 offset0:4 offset1:5
	s_waitcnt lgkmcnt(2)
	v_add_co_u32 v1, vcc_lo, v1, v4
	v_add_co_ci_u32_e64 v2, null, v2, v5, vcc_lo
	v_add_co_u32 v1, vcc_lo, v1, v6
	v_add_co_ci_u32_e64 v2, null, v2, v7, vcc_lo
	ds_read2_b64 v[4:7], v16 offset0:6 offset1:7
	s_waitcnt lgkmcnt(2)
	v_add_co_u32 v1, vcc_lo, v1, v8
	v_add_co_ci_u32_e64 v2, null, v2, v9, vcc_lo
	v_add_co_u32 v1, vcc_lo, v1, v10
	v_add_co_ci_u32_e64 v2, null, v2, v11, vcc_lo
	s_waitcnt lgkmcnt(1)
	v_add_co_u32 v1, vcc_lo, v1, v12
	v_add_co_ci_u32_e64 v2, null, v2, v13, vcc_lo
	v_add_co_u32 v1, vcc_lo, v1, v14
	v_add_co_ci_u32_e64 v2, null, v2, v15, vcc_lo
	;; [unrolled: 5-line block ×3, first 2 shown]
	s_cbranch_scc1 .LBB15_20
; %bb.21:
	s_inst_prefetch 0x2
	s_add_i32 s2, s8, 9
.LBB15_22:
	s_and_b32 s1, s1, 7
	s_cmp_eq_u32 s1, 0
	s_cbranch_scc1 .LBB15_25
; %bb.23:
	s_lshl_b32 s2, s2, 3
.LBB15_24:                              ; =>This Inner Loop Header: Depth=1
	v_mov_b32_e32 v4, s2
	s_add_i32 s1, s1, -1
	s_add_i32 s2, s2, 8
	s_cmp_lg_u32 s1, 0
	ds_read_b64 v[4:5], v4
	s_waitcnt lgkmcnt(0)
	v_add_co_u32 v1, vcc_lo, v1, v4
	v_add_co_ci_u32_e64 v2, null, v2, v5, vcc_lo
	s_cbranch_scc1 .LBB15_24
.LBB15_25:
	v_mov_b32_e32 v4, 0
	s_waitcnt lgkmcnt(0)
	ds_write_b64 v4, v[1:2]
.LBB15_26:
	s_or_b32 exec_lo, exec_lo, s0
	s_mov_b32 s0, 0
	s_waitcnt lgkmcnt(0)
	s_barrier
.LBB15_27:
	s_and_b32 vcc_lo, exec_lo, s0
	s_cbranch_vccz .LBB15_45
; %bb.28:
	s_mov_b32 s0, exec_lo
	s_barrier
	buffer_gl0_inv
	v_cmpx_gt_u32_e32 0x80, v0
	s_cbranch_execz .LBB15_30
; %bb.29:
	ds_read2st64_b64 v[4:7], v3 offset1:2
	s_waitcnt lgkmcnt(0)
	v_add_co_u32 v1, vcc_lo, v4, v6
	v_add_co_ci_u32_e64 v2, null, v5, v7, vcc_lo
	ds_write_b64 v3, v[1:2]
.LBB15_30:
	s_or_b32 exec_lo, exec_lo, s0
	s_mov_b32 s0, exec_lo
	s_waitcnt lgkmcnt(0)
	s_barrier
	buffer_gl0_inv
	v_cmpx_gt_u32_e32 64, v0
	s_cbranch_execz .LBB15_32
; %bb.31:
	ds_read2st64_b64 v[4:7], v3 offset1:1
	s_waitcnt lgkmcnt(0)
	v_add_co_u32 v1, vcc_lo, v4, v6
	v_add_co_ci_u32_e64 v2, null, v5, v7, vcc_lo
	ds_write_b64 v3, v[1:2]
.LBB15_32:
	s_or_b32 exec_lo, exec_lo, s0
	s_mov_b32 s0, exec_lo
	s_waitcnt lgkmcnt(0)
	s_barrier
	buffer_gl0_inv
	v_cmpx_gt_u32_e32 32, v0
	s_cbranch_execz .LBB15_34
; %bb.33:
	ds_read2_b64 v[4:7], v3 offset1:32
	s_waitcnt lgkmcnt(0)
	v_add_co_u32 v1, vcc_lo, v4, v6
	v_add_co_ci_u32_e64 v2, null, v5, v7, vcc_lo
	ds_write_b64 v3, v[1:2]
.LBB15_34:
	s_or_b32 exec_lo, exec_lo, s0
	s_mov_b32 s0, exec_lo
	s_waitcnt lgkmcnt(0)
	s_barrier
	buffer_gl0_inv
	v_cmpx_gt_u32_e32 16, v0
	s_cbranch_execz .LBB15_36
; %bb.35:
	ds_read2_b64 v[4:7], v3 offset1:16
	s_waitcnt lgkmcnt(0)
	v_add_co_u32 v1, vcc_lo, v4, v6
	v_add_co_ci_u32_e64 v2, null, v5, v7, vcc_lo
	ds_write_b64 v3, v[1:2]
.LBB15_36:
	;; [unrolled: 14-line block ×5, first 2 shown]
	s_or_b32 exec_lo, exec_lo, s0
	s_mov_b32 s0, exec_lo
	s_waitcnt lgkmcnt(0)
	s_barrier
	buffer_gl0_inv
	v_cmpx_eq_u32_e32 0, v0
	s_cbranch_execz .LBB15_44
; %bb.43:
	v_mov_b32_e32 v5, 0
	ds_read_b128 v[1:4], v5
	s_waitcnt lgkmcnt(0)
	v_add_co_u32 v1, vcc_lo, v1, v3
	v_add_co_ci_u32_e64 v2, null, v2, v4, vcc_lo
	ds_write_b64 v5, v[1:2]
.LBB15_44:
	s_or_b32 exec_lo, exec_lo, s0
	s_waitcnt lgkmcnt(0)
	s_barrier
.LBB15_45:
	buffer_gl0_inv
	s_mov_b32 s0, exec_lo
	v_cmpx_eq_u32_e32 0, v0
	s_cbranch_execz .LBB15_47
; %bb.46:
	v_mov_b32_e32 v2, 0
	s_ashr_i32 s7, s6, 31
	s_lshl_b64 s[0:1], s[6:7], 3
	s_add_u32 s0, s4, s0
	ds_read_b64 v[0:1], v2
	s_addc_u32 s1, s5, s1
	s_waitcnt lgkmcnt(0)
	global_store_dwordx2 v2, v[0:1], s[0:1]
.LBB15_47:
	s_endpgm
	.section	.rodata,"a",@progbits
	.p2align	6, 0x0
	.amdhsa_kernel _ZN9rocsparseL14nnz_kernel_colILi256EliDF16_EEv16rocsparse_order_T1_S2_PKT2_lPT0_
		.amdhsa_group_segment_fixed_size 2048
		.amdhsa_private_segment_fixed_size 0
		.amdhsa_kernarg_size 40
		.amdhsa_user_sgpr_count 6
		.amdhsa_user_sgpr_private_segment_buffer 1
		.amdhsa_user_sgpr_dispatch_ptr 0
		.amdhsa_user_sgpr_queue_ptr 0
		.amdhsa_user_sgpr_kernarg_segment_ptr 1
		.amdhsa_user_sgpr_dispatch_id 0
		.amdhsa_user_sgpr_flat_scratch_init 0
		.amdhsa_user_sgpr_private_segment_size 0
		.amdhsa_wavefront_size32 1
		.amdhsa_uses_dynamic_stack 0
		.amdhsa_system_sgpr_private_segment_wavefront_offset 0
		.amdhsa_system_sgpr_workgroup_id_x 1
		.amdhsa_system_sgpr_workgroup_id_y 0
		.amdhsa_system_sgpr_workgroup_id_z 0
		.amdhsa_system_sgpr_workgroup_info 0
		.amdhsa_system_vgpr_workitem_id 0
		.amdhsa_next_free_vgpr 17
		.amdhsa_next_free_sgpr 14
		.amdhsa_reserve_vcc 1
		.amdhsa_reserve_flat_scratch 0
		.amdhsa_float_round_mode_32 0
		.amdhsa_float_round_mode_16_64 0
		.amdhsa_float_denorm_mode_32 3
		.amdhsa_float_denorm_mode_16_64 3
		.amdhsa_dx10_clamp 1
		.amdhsa_ieee_mode 1
		.amdhsa_fp16_overflow 0
		.amdhsa_workgroup_processor_mode 1
		.amdhsa_memory_ordered 1
		.amdhsa_forward_progress 1
		.amdhsa_shared_vgpr_count 0
		.amdhsa_exception_fp_ieee_invalid_op 0
		.amdhsa_exception_fp_denorm_src 0
		.amdhsa_exception_fp_ieee_div_zero 0
		.amdhsa_exception_fp_ieee_overflow 0
		.amdhsa_exception_fp_ieee_underflow 0
		.amdhsa_exception_fp_ieee_inexact 0
		.amdhsa_exception_int_div_zero 0
	.end_amdhsa_kernel
	.section	.text._ZN9rocsparseL14nnz_kernel_colILi256EliDF16_EEv16rocsparse_order_T1_S2_PKT2_lPT0_,"axG",@progbits,_ZN9rocsparseL14nnz_kernel_colILi256EliDF16_EEv16rocsparse_order_T1_S2_PKT2_lPT0_,comdat
.Lfunc_end15:
	.size	_ZN9rocsparseL14nnz_kernel_colILi256EliDF16_EEv16rocsparse_order_T1_S2_PKT2_lPT0_, .Lfunc_end15-_ZN9rocsparseL14nnz_kernel_colILi256EliDF16_EEv16rocsparse_order_T1_S2_PKT2_lPT0_
                                        ; -- End function
	.set _ZN9rocsparseL14nnz_kernel_colILi256EliDF16_EEv16rocsparse_order_T1_S2_PKT2_lPT0_.num_vgpr, 17
	.set _ZN9rocsparseL14nnz_kernel_colILi256EliDF16_EEv16rocsparse_order_T1_S2_PKT2_lPT0_.num_agpr, 0
	.set _ZN9rocsparseL14nnz_kernel_colILi256EliDF16_EEv16rocsparse_order_T1_S2_PKT2_lPT0_.numbered_sgpr, 14
	.set _ZN9rocsparseL14nnz_kernel_colILi256EliDF16_EEv16rocsparse_order_T1_S2_PKT2_lPT0_.num_named_barrier, 0
	.set _ZN9rocsparseL14nnz_kernel_colILi256EliDF16_EEv16rocsparse_order_T1_S2_PKT2_lPT0_.private_seg_size, 0
	.set _ZN9rocsparseL14nnz_kernel_colILi256EliDF16_EEv16rocsparse_order_T1_S2_PKT2_lPT0_.uses_vcc, 1
	.set _ZN9rocsparseL14nnz_kernel_colILi256EliDF16_EEv16rocsparse_order_T1_S2_PKT2_lPT0_.uses_flat_scratch, 0
	.set _ZN9rocsparseL14nnz_kernel_colILi256EliDF16_EEv16rocsparse_order_T1_S2_PKT2_lPT0_.has_dyn_sized_stack, 0
	.set _ZN9rocsparseL14nnz_kernel_colILi256EliDF16_EEv16rocsparse_order_T1_S2_PKT2_lPT0_.has_recursion, 0
	.set _ZN9rocsparseL14nnz_kernel_colILi256EliDF16_EEv16rocsparse_order_T1_S2_PKT2_lPT0_.has_indirect_call, 0
	.section	.AMDGPU.csdata,"",@progbits
; Kernel info:
; codeLenInByte = 1828
; TotalNumSgprs: 16
; NumVgprs: 17
; ScratchSize: 0
; MemoryBound: 0
; FloatMode: 240
; IeeeMode: 1
; LDSByteSize: 2048 bytes/workgroup (compile time only)
; SGPRBlocks: 0
; VGPRBlocks: 2
; NumSGPRsForWavesPerEU: 16
; NumVGPRsForWavesPerEU: 17
; Occupancy: 16
; WaveLimiterHint : 0
; COMPUTE_PGM_RSRC2:SCRATCH_EN: 0
; COMPUTE_PGM_RSRC2:USER_SGPR: 6
; COMPUTE_PGM_RSRC2:TRAP_HANDLER: 0
; COMPUTE_PGM_RSRC2:TGID_X_EN: 1
; COMPUTE_PGM_RSRC2:TGID_Y_EN: 0
; COMPUTE_PGM_RSRC2:TGID_Z_EN: 0
; COMPUTE_PGM_RSRC2:TIDIG_COMP_CNT: 0
	.section	.text._ZN9rocsparseL14nnz_kernel_rowILi64ELi16ElifEEv16rocsparse_order_T2_S2_PKT3_lPT1_,"axG",@progbits,_ZN9rocsparseL14nnz_kernel_rowILi64ELi16ElifEEv16rocsparse_order_T2_S2_PKT3_lPT1_,comdat
	.globl	_ZN9rocsparseL14nnz_kernel_rowILi64ELi16ElifEEv16rocsparse_order_T2_S2_PKT3_lPT1_ ; -- Begin function _ZN9rocsparseL14nnz_kernel_rowILi64ELi16ElifEEv16rocsparse_order_T2_S2_PKT3_lPT1_
	.p2align	8
	.type	_ZN9rocsparseL14nnz_kernel_rowILi64ELi16ElifEEv16rocsparse_order_T2_S2_PKT3_lPT1_,@function
_ZN9rocsparseL14nnz_kernel_rowILi64ELi16ElifEEv16rocsparse_order_T2_S2_PKT3_lPT1_: ; @_ZN9rocsparseL14nnz_kernel_rowILi64ELi16ElifEEv16rocsparse_order_T2_S2_PKT3_lPT1_
; %bb.0:
	s_clause 0x2
	s_load_dword s0, s[4:5], 0x34
	s_load_dwordx8 s[8:15], s[4:5], 0x0
	s_load_dwordx2 s[16:17], s[4:5], 0x20
	s_lshl_b32 s5, s6, 8
	v_mov_b32_e32 v2, 0
	s_mov_b32 s19, 0
	s_mov_b32 s18, exec_lo
	v_mov_b32_e32 v3, v2
	v_mov_b32_e32 v4, v2
	;; [unrolled: 1-line block ×7, first 2 shown]
	s_waitcnt lgkmcnt(0)
	s_and_b32 s0, s0, 0xffff
	v_mad_u32_u24 v22, v1, s0, v0
	s_ashr_i32 s0, s10, 31
	s_lshr_b32 s0, s0, 26
	s_add_i32 s11, s10, s0
	v_and_b32_e32 v23, 63, v22
	v_lshrrev_b32_e32 v0, 4, v22
	s_andn2_b32 s11, s11, 63
	v_or_b32_e32 v18, s5, v23
	v_and_b32_e32 v0, 0x7ffffc, v0
	v_or_b32_e32 v26, 64, v18
	v_or_b32_e32 v25, 0x80, v18
	;; [unrolled: 1-line block ×3, first 2 shown]
	v_cmpx_gt_i32_e64 s11, v0
	s_cbranch_execz .LBB16_28
; %bb.1:
	v_lshrrev_b32_e32 v31, 6, v22
	v_add_nc_u32_e32 v3, s5, v23
	v_cmp_gt_i32_e64 s0, s9, v18
	v_cmp_gt_i32_e64 s1, s9, v26
	;; [unrolled: 1-line block ×3, first 2 shown]
	v_lshlrev_b32_e32 v27, 2, v31
	v_ashrrev_i32_e32 v4, 31, v3
	v_mul_lo_u32 v16, s15, v3
	v_mad_u64_u32 v[5:6], null, s14, v3, 0
	v_or_b32_e32 v13, 3, v27
	v_mul_lo_u32 v17, s14, v4
	v_or_b32_e32 v19, 2, v27
	v_add_nc_u32_e32 v15, 64, v3
	v_lshlrev_b64 v[9:10], 2, v[3:4]
	v_mad_u64_u32 v[7:8], null, s14, v13, 0
	v_mad_u64_u32 v[11:12], null, s14, v19, 0
	v_ashrrev_i32_e32 v4, 31, v15
	v_add3_u32 v6, v6, v17, v16
	v_mul_lo_u32 v20, s15, v15
	v_lshlrev_b32_e32 v35, 4, v31
	v_mov_b32_e32 v1, v8
	v_mul_lo_u32 v21, s14, v4
	v_lshlrev_b64 v[4:5], 2, v[5:6]
	v_add_nc_u32_e32 v28, 0x80, v3
	v_mad_u64_u32 v[16:17], null, s14, v27, s[14:15]
	v_mad_u64_u32 v[13:14], null, s15, v13, v[1:2]
	;; [unrolled: 1-line block ×3, first 2 shown]
	v_mov_b32_e32 v1, v12
	v_ashrrev_i32_e32 v29, 31, v28
	v_cmp_gt_i32_e64 s3, s9, v24
	s_cmp_lg_u32 s8, 1
	v_mov_b32_e32 v8, v13
	v_mad_u64_u32 v[12:13], null, s15, v19, v[1:2]
	v_add_co_u32 v1, vcc_lo, v4, v35
	v_lshlrev_b64 v[6:7], 2, v[7:8]
	v_add3_u32 v15, v15, v21, v20
	v_add_co_ci_u32_e64 v19, null, 0, v5, vcc_lo
	s_cselect_b32 s20, -1, 0
	s_lshl_b64 s[6:7], s[14:15], 8
	v_add_co_u32 v20, vcc_lo, v6, v9
	v_add_co_ci_u32_e64 v21, null, v7, v10, vcc_lo
	v_mad_u64_u32 v[7:8], null, s14, v28, 0
	v_mov_b32_e32 v6, v17
	v_lshlrev_b64 v[4:5], 2, v[14:15]
	v_mul_lo_u32 v15, s14, v29
	v_mul_lo_u32 v17, s15, v28
	v_mad_u64_u32 v[13:14], null, s15, v27, v[6:7]
	v_add_nc_u32_e32 v14, 0xc0, v3
	v_add_co_u32 v27, vcc_lo, v4, v35
	v_add_co_ci_u32_e64 v28, null, 0, v5, vcc_lo
	v_lshlrev_b64 v[5:6], 2, v[11:12]
	v_ashrrev_i32_e32 v29, 31, v14
	v_add3_u32 v8, v8, v15, v17
	v_mad_u64_u32 v[3:4], null, s14, v31, 0
	v_mul_lo_u32 v32, s15, v14
	v_mul_lo_u32 v15, s14, v29
	v_add_co_u32 v29, vcc_lo, v5, v9
	v_add_co_ci_u32_e64 v30, null, v6, v10, vcc_lo
	v_lshlrev_b64 v[5:6], 2, v[7:8]
	v_mad_u64_u32 v[11:12], null, s14, v14, 0
	v_mov_b32_e32 v17, v13
	v_mad_u64_u32 v[7:8], null, s15, v31, v[4:5]
	v_lshlrev_b64 v[13:14], 2, v[16:17]
	v_add3_u32 v12, v12, v15, v32
	v_add_co_u32 v31, vcc_lo, v5, v35
	v_add_co_ci_u32_e64 v32, null, 0, v6, vcc_lo
	v_mov_b32_e32 v4, v7
	v_lshlrev_b64 v[5:6], 2, v[11:12]
	v_add_co_u32 v33, vcc_lo, v13, v9
	v_add_co_ci_u32_e64 v34, null, v14, v10, vcc_lo
	v_lshlrev_b64 v[3:4], 4, v[3:4]
	v_add_co_u32 v35, vcc_lo, v5, v35
	v_add_co_ci_u32_e64 v36, null, 0, v6, vcc_lo
	v_mov_b32_e32 v5, v2
	v_add_co_u32 v37, vcc_lo, v3, v9
	v_add_co_ci_u32_e64 v38, null, v4, v10, vcc_lo
	v_mov_b32_e32 v3, v2
	v_mov_b32_e32 v4, v2
	;; [unrolled: 1-line block ×6, first 2 shown]
	s_branch .LBB16_4
.LBB16_2:                               ;   in Loop: Header=BB16_4 Depth=1
	v_mov_b32_e32 v2, v10
	v_mov_b32_e32 v3, v11
	;; [unrolled: 1-line block ×8, first 2 shown]
.LBB16_3:                               ;   in Loop: Header=BB16_4 Depth=1
	s_or_b32 exec_lo, exec_lo, s4
	v_add_co_u32 v1, vcc_lo, 0x100, v1
	v_add_co_ci_u32_e64 v19, null, 0, v19, vcc_lo
	v_add_co_u32 v20, vcc_lo, v20, s6
	v_add_co_ci_u32_e64 v21, null, s7, v21, vcc_lo
	;; [unrolled: 2-line block ×4, first 2 shown]
	v_add_co_u32 v31, vcc_lo, 0x100, v31
	v_add_nc_u32_e32 v0, 64, v0
	v_add_co_ci_u32_e64 v32, null, 0, v32, vcc_lo
	v_add_co_u32 v33, vcc_lo, v33, s6
	v_add_co_ci_u32_e64 v34, null, s7, v34, vcc_lo
	v_add_co_u32 v35, vcc_lo, 0x100, v35
	v_add_co_ci_u32_e64 v36, null, 0, v36, vcc_lo
	v_cmp_le_i32_e32 vcc_lo, s11, v0
	v_add_co_u32 v37, s4, v37, s6
	v_add_co_ci_u32_e64 v38, null, s7, v38, s4
	s_or_b32 s19, vcc_lo, s19
	s_andn2_b32 exec_lo, exec_lo, s19
	s_cbranch_execz .LBB16_27
.LBB16_4:                               ; =>This Inner Loop Header: Depth=1
	s_and_saveexec_b32 s4, s0
	s_cbranch_execnz .LBB16_8
; %bb.5:                                ;   in Loop: Header=BB16_4 Depth=1
	s_or_b32 exec_lo, exec_lo, s4
	s_and_saveexec_b32 s4, s1
	s_cbranch_execnz .LBB16_13
.LBB16_6:                               ;   in Loop: Header=BB16_4 Depth=1
	s_or_b32 exec_lo, exec_lo, s4
	s_and_saveexec_b32 s4, s2
	s_cbranch_execnz .LBB16_18
.LBB16_7:                               ;   in Loop: Header=BB16_4 Depth=1
	s_or_b32 exec_lo, exec_lo, s4
	s_and_saveexec_b32 s4, s3
	s_cbranch_execz .LBB16_3
	s_branch .LBB16_23
.LBB16_8:                               ;   in Loop: Header=BB16_4 Depth=1
	s_andn2_b32 vcc_lo, exec_lo, s20
	s_mov_b32 s21, -1
                                        ; implicit-def: $vgpr10_vgpr11_vgpr12_vgpr13_vgpr14_vgpr15_vgpr16_vgpr17
	s_cbranch_vccnz .LBB16_10
; %bb.9:                                ;   in Loop: Header=BB16_4 Depth=1
	v_add_co_u32 v10, vcc_lo, s12, v1
	v_add_co_ci_u32_e64 v11, null, s13, v19, vcc_lo
	s_mov_b32 s21, 0
	global_load_dwordx4 v[11:14], v[10:11], off
	v_add_co_u32 v10, vcc_lo, v2, 1
	v_add_co_ci_u32_e64 v15, null, 0, v3, vcc_lo
	s_waitcnt vmcnt(0)
	v_cmp_neq_f32_e32 vcc_lo, 0, v11
	v_cndmask_b32_e32 v10, v2, v10, vcc_lo
	v_cndmask_b32_e32 v11, v3, v15, vcc_lo
	v_add_co_u32 v15, vcc_lo, v10, 1
	v_add_co_ci_u32_e64 v16, null, 0, v11, vcc_lo
	v_cmp_neq_f32_e32 vcc_lo, 0, v12
	v_cndmask_b32_e32 v10, v10, v15, vcc_lo
	v_cndmask_b32_e32 v11, v11, v16, vcc_lo
	v_mov_b32_e32 v16, v8
	v_add_co_u32 v12, vcc_lo, v10, 1
	v_add_co_ci_u32_e64 v15, null, 0, v11, vcc_lo
	v_cmp_neq_f32_e32 vcc_lo, 0, v13
	v_mov_b32_e32 v13, v5
	v_cndmask_b32_e32 v10, v10, v12, vcc_lo
	v_cndmask_b32_e32 v11, v11, v15, vcc_lo
	v_mov_b32_e32 v12, v4
	v_mov_b32_e32 v15, v7
	v_add_co_u32 v17, vcc_lo, v10, 1
	v_add_co_ci_u32_e64 v39, null, 0, v11, vcc_lo
	v_cmp_neq_f32_e32 vcc_lo, 0, v14
	v_mov_b32_e32 v14, v6
	v_cndmask_b32_e32 v11, v11, v39, vcc_lo
	v_cndmask_b32_e32 v10, v10, v17, vcc_lo
	v_mov_b32_e32 v17, v9
.LBB16_10:                              ;   in Loop: Header=BB16_4 Depth=1
	s_andn2_b32 vcc_lo, exec_lo, s21
	s_cbranch_vccnz .LBB16_12
; %bb.11:                               ;   in Loop: Header=BB16_4 Depth=1
	v_add_co_u32 v10, vcc_lo, s12, v37
	v_add_co_ci_u32_e64 v11, null, s13, v38, vcc_lo
	global_load_dword v12, v[10:11], off
	v_add_co_u32 v10, vcc_lo, s12, v33
	v_add_co_ci_u32_e64 v11, null, s13, v34, vcc_lo
	global_load_dword v13, v[10:11], off
	;; [unrolled: 3-line block ×4, first 2 shown]
	v_add_co_u32 v11, vcc_lo, v2, 1
	v_add_co_ci_u32_e64 v15, null, 0, v3, vcc_lo
	s_waitcnt vmcnt(3)
	v_cmp_neq_f32_e32 vcc_lo, 0, v12
	v_cndmask_b32_e32 v2, v2, v11, vcc_lo
	v_cndmask_b32_e32 v3, v3, v15, vcc_lo
	v_add_co_u32 v11, vcc_lo, v2, 1
	v_add_co_ci_u32_e64 v12, null, 0, v3, vcc_lo
	s_waitcnt vmcnt(2)
	v_cmp_neq_f32_e32 vcc_lo, 0, v13
	v_cndmask_b32_e32 v2, v2, v11, vcc_lo
	v_cndmask_b32_e32 v3, v3, v12, vcc_lo
	;; [unrolled: 6-line block ×4, first 2 shown]
	v_mov_b32_e32 v17, v9
	v_mov_b32_e32 v16, v8
	;; [unrolled: 1-line block ×8, first 2 shown]
.LBB16_12:                              ;   in Loop: Header=BB16_4 Depth=1
	v_mov_b32_e32 v2, v10
	v_mov_b32_e32 v3, v11
	;; [unrolled: 1-line block ×8, first 2 shown]
	s_or_b32 exec_lo, exec_lo, s4
	s_and_saveexec_b32 s4, s1
	s_cbranch_execz .LBB16_6
.LBB16_13:                              ;   in Loop: Header=BB16_4 Depth=1
	s_andn2_b32 vcc_lo, exec_lo, s20
	s_mov_b32 s21, -1
                                        ; implicit-def: $vgpr10_vgpr11_vgpr12_vgpr13_vgpr14_vgpr15_vgpr16_vgpr17
	s_cbranch_vccnz .LBB16_15
; %bb.14:                               ;   in Loop: Header=BB16_4 Depth=1
	v_add_co_u32 v10, vcc_lo, s12, v27
	v_add_co_ci_u32_e64 v11, null, s13, v28, vcc_lo
	v_add_co_u32 v14, vcc_lo, v4, 1
	v_add_co_ci_u32_e64 v15, null, 0, v5, vcc_lo
	global_load_dwordx4 v[10:13], v[10:11], off
	s_mov_b32 s21, 0
	s_waitcnt vmcnt(0)
	v_cmp_neq_f32_e32 vcc_lo, 0, v10
	v_cndmask_b32_e32 v14, v4, v14, vcc_lo
	v_cndmask_b32_e32 v10, v5, v15, vcc_lo
	v_add_co_u32 v15, vcc_lo, v14, 1
	v_add_co_ci_u32_e64 v16, null, 0, v10, vcc_lo
	v_cmp_neq_f32_e32 vcc_lo, 0, v11
	v_cndmask_b32_e32 v11, v14, v15, vcc_lo
	v_cndmask_b32_e32 v10, v10, v16, vcc_lo
	v_mov_b32_e32 v16, v8
	v_add_co_u32 v14, vcc_lo, v11, 1
	v_add_co_ci_u32_e64 v15, null, 0, v10, vcc_lo
	v_cmp_neq_f32_e32 vcc_lo, 0, v12
	v_cndmask_b32_e32 v17, v11, v14, vcc_lo
	v_cndmask_b32_e32 v12, v10, v15, vcc_lo
	v_mov_b32_e32 v10, v2
	v_mov_b32_e32 v11, v3
	;; [unrolled: 1-line block ×3, first 2 shown]
	v_add_co_u32 v39, vcc_lo, v17, 1
	v_add_co_ci_u32_e64 v40, null, 0, v12, vcc_lo
	v_cmp_neq_f32_e32 vcc_lo, 0, v13
	v_mov_b32_e32 v15, v7
	v_cndmask_b32_e32 v13, v12, v40, vcc_lo
	v_cndmask_b32_e32 v12, v17, v39, vcc_lo
	v_mov_b32_e32 v17, v9
.LBB16_15:                              ;   in Loop: Header=BB16_4 Depth=1
	s_andn2_b32 vcc_lo, exec_lo, s21
	s_cbranch_vccnz .LBB16_17
; %bb.16:                               ;   in Loop: Header=BB16_4 Depth=1
	v_add_co_u32 v10, vcc_lo, s12, v37
	v_add_co_ci_u32_e64 v11, null, s13, v38, vcc_lo
	global_load_dword v12, v[10:11], off offset:256
	v_add_co_u32 v10, vcc_lo, s12, v33
	v_add_co_ci_u32_e64 v11, null, s13, v34, vcc_lo
	global_load_dword v13, v[10:11], off offset:256
	;; [unrolled: 3-line block ×4, first 2 shown]
	v_add_co_u32 v11, vcc_lo, v4, 1
	v_add_co_ci_u32_e64 v15, null, 0, v5, vcc_lo
	s_waitcnt vmcnt(3)
	v_cmp_neq_f32_e32 vcc_lo, 0, v12
	v_cndmask_b32_e32 v4, v4, v11, vcc_lo
	v_cndmask_b32_e32 v5, v5, v15, vcc_lo
	v_add_co_u32 v11, vcc_lo, v4, 1
	v_add_co_ci_u32_e64 v12, null, 0, v5, vcc_lo
	s_waitcnt vmcnt(2)
	v_cmp_neq_f32_e32 vcc_lo, 0, v13
	v_cndmask_b32_e32 v4, v4, v11, vcc_lo
	v_cndmask_b32_e32 v5, v5, v12, vcc_lo
	;; [unrolled: 6-line block ×4, first 2 shown]
	v_mov_b32_e32 v17, v9
	v_mov_b32_e32 v16, v8
	;; [unrolled: 1-line block ×8, first 2 shown]
.LBB16_17:                              ;   in Loop: Header=BB16_4 Depth=1
	v_mov_b32_e32 v2, v10
	v_mov_b32_e32 v3, v11
	;; [unrolled: 1-line block ×8, first 2 shown]
	s_or_b32 exec_lo, exec_lo, s4
	s_and_saveexec_b32 s4, s2
	s_cbranch_execz .LBB16_7
.LBB16_18:                              ;   in Loop: Header=BB16_4 Depth=1
	s_andn2_b32 vcc_lo, exec_lo, s20
	s_mov_b32 s21, -1
                                        ; implicit-def: $vgpr10_vgpr11_vgpr12_vgpr13_vgpr14_vgpr15_vgpr16_vgpr17
	s_cbranch_vccnz .LBB16_20
; %bb.19:                               ;   in Loop: Header=BB16_4 Depth=1
	v_add_co_u32 v10, vcc_lo, s12, v31
	v_add_co_ci_u32_e64 v11, null, s13, v32, vcc_lo
	v_add_co_u32 v14, vcc_lo, v6, 1
	v_add_co_ci_u32_e64 v15, null, 0, v7, vcc_lo
	global_load_dwordx4 v[10:13], v[10:11], off
	s_mov_b32 s21, 0
	s_waitcnt vmcnt(0)
	v_cmp_neq_f32_e32 vcc_lo, 0, v10
	v_cndmask_b32_e32 v14, v6, v14, vcc_lo
	v_cndmask_b32_e32 v10, v7, v15, vcc_lo
	v_add_co_u32 v15, vcc_lo, v14, 1
	v_add_co_ci_u32_e64 v16, null, 0, v10, vcc_lo
	v_cmp_neq_f32_e32 vcc_lo, 0, v11
	v_cndmask_b32_e32 v11, v14, v15, vcc_lo
	v_cndmask_b32_e32 v10, v10, v16, vcc_lo
	v_mov_b32_e32 v16, v8
	v_add_co_u32 v14, vcc_lo, v11, 1
	v_add_co_ci_u32_e64 v15, null, 0, v10, vcc_lo
	v_cmp_neq_f32_e32 vcc_lo, 0, v12
	v_mov_b32_e32 v12, v4
	v_cndmask_b32_e32 v14, v11, v14, vcc_lo
	v_cndmask_b32_e32 v15, v10, v15, vcc_lo
	v_mov_b32_e32 v10, v2
	v_mov_b32_e32 v11, v3
	v_add_co_u32 v17, vcc_lo, v14, 1
	v_add_co_ci_u32_e64 v39, null, 0, v15, vcc_lo
	v_cmp_neq_f32_e32 vcc_lo, 0, v13
	v_mov_b32_e32 v13, v5
	v_cndmask_b32_e32 v15, v15, v39, vcc_lo
	v_cndmask_b32_e32 v14, v14, v17, vcc_lo
	v_mov_b32_e32 v17, v9
.LBB16_20:                              ;   in Loop: Header=BB16_4 Depth=1
	s_andn2_b32 vcc_lo, exec_lo, s21
	s_cbranch_vccnz .LBB16_22
; %bb.21:                               ;   in Loop: Header=BB16_4 Depth=1
	v_add_co_u32 v10, vcc_lo, s12, v37
	v_add_co_ci_u32_e64 v11, null, s13, v38, vcc_lo
	global_load_dword v12, v[10:11], off offset:512
	v_add_co_u32 v10, vcc_lo, s12, v33
	v_add_co_ci_u32_e64 v11, null, s13, v34, vcc_lo
	global_load_dword v13, v[10:11], off offset:512
	;; [unrolled: 3-line block ×4, first 2 shown]
	v_add_co_u32 v11, vcc_lo, v6, 1
	v_add_co_ci_u32_e64 v15, null, 0, v7, vcc_lo
	s_waitcnt vmcnt(3)
	v_cmp_neq_f32_e32 vcc_lo, 0, v12
	v_cndmask_b32_e32 v6, v6, v11, vcc_lo
	v_cndmask_b32_e32 v7, v7, v15, vcc_lo
	v_add_co_u32 v11, vcc_lo, v6, 1
	v_add_co_ci_u32_e64 v12, null, 0, v7, vcc_lo
	s_waitcnt vmcnt(2)
	v_cmp_neq_f32_e32 vcc_lo, 0, v13
	v_cndmask_b32_e32 v6, v6, v11, vcc_lo
	v_cndmask_b32_e32 v7, v7, v12, vcc_lo
	;; [unrolled: 6-line block ×4, first 2 shown]
	v_mov_b32_e32 v17, v9
	v_mov_b32_e32 v16, v8
	;; [unrolled: 1-line block ×8, first 2 shown]
.LBB16_22:                              ;   in Loop: Header=BB16_4 Depth=1
	v_mov_b32_e32 v2, v10
	v_mov_b32_e32 v3, v11
	;; [unrolled: 1-line block ×8, first 2 shown]
	s_or_b32 exec_lo, exec_lo, s4
	s_and_saveexec_b32 s4, s3
	s_cbranch_execz .LBB16_3
.LBB16_23:                              ;   in Loop: Header=BB16_4 Depth=1
	s_andn2_b32 vcc_lo, exec_lo, s20
	s_mov_b32 s21, -1
                                        ; implicit-def: $vgpr10_vgpr11_vgpr12_vgpr13_vgpr14_vgpr15_vgpr16_vgpr17
	s_cbranch_vccnz .LBB16_25
; %bb.24:                               ;   in Loop: Header=BB16_4 Depth=1
	v_add_co_u32 v10, vcc_lo, s12, v35
	v_add_co_ci_u32_e64 v11, null, s13, v36, vcc_lo
	v_add_co_u32 v14, vcc_lo, v8, 1
	v_add_co_ci_u32_e64 v15, null, 0, v9, vcc_lo
	global_load_dwordx4 v[10:13], v[10:11], off
	s_mov_b32 s21, 0
	s_waitcnt vmcnt(0)
	v_cmp_neq_f32_e32 vcc_lo, 0, v10
	v_cndmask_b32_e32 v14, v8, v14, vcc_lo
	v_cndmask_b32_e32 v10, v9, v15, vcc_lo
	v_add_co_u32 v15, vcc_lo, v14, 1
	v_add_co_ci_u32_e64 v16, null, 0, v10, vcc_lo
	v_cmp_neq_f32_e32 vcc_lo, 0, v11
	v_cndmask_b32_e32 v11, v14, v15, vcc_lo
	v_cndmask_b32_e32 v10, v10, v16, vcc_lo
	v_add_co_u32 v14, vcc_lo, v11, 1
	v_add_co_ci_u32_e64 v15, null, 0, v10, vcc_lo
	v_cmp_neq_f32_e32 vcc_lo, 0, v12
	v_mov_b32_e32 v12, v4
	v_cndmask_b32_e32 v16, v11, v14, vcc_lo
	v_cndmask_b32_e32 v15, v10, v15, vcc_lo
	v_mov_b32_e32 v10, v2
	v_mov_b32_e32 v11, v3
	;; [unrolled: 1-line block ×3, first 2 shown]
	v_add_co_u32 v39, vcc_lo, v16, 1
	v_add_co_ci_u32_e64 v17, null, 0, v15, vcc_lo
	v_cmp_neq_f32_e32 vcc_lo, 0, v13
	v_mov_b32_e32 v13, v5
	v_cndmask_b32_e32 v17, v15, v17, vcc_lo
	v_cndmask_b32_e32 v16, v16, v39, vcc_lo
	v_mov_b32_e32 v15, v7
.LBB16_25:                              ;   in Loop: Header=BB16_4 Depth=1
	s_andn2_b32 vcc_lo, exec_lo, s21
	s_cbranch_vccnz .LBB16_2
; %bb.26:                               ;   in Loop: Header=BB16_4 Depth=1
	v_add_co_u32 v10, vcc_lo, s12, v37
	v_add_co_ci_u32_e64 v11, null, s13, v38, vcc_lo
	global_load_dword v12, v[10:11], off offset:768
	v_add_co_u32 v10, vcc_lo, s12, v33
	v_add_co_ci_u32_e64 v11, null, s13, v34, vcc_lo
	global_load_dword v13, v[10:11], off offset:768
	;; [unrolled: 3-line block ×4, first 2 shown]
	v_add_co_u32 v11, vcc_lo, v8, 1
	v_add_co_ci_u32_e64 v15, null, 0, v9, vcc_lo
	s_waitcnt vmcnt(3)
	v_cmp_neq_f32_e32 vcc_lo, 0, v12
	v_cndmask_b32_e32 v8, v8, v11, vcc_lo
	v_cndmask_b32_e32 v9, v9, v15, vcc_lo
	v_add_co_u32 v11, vcc_lo, v8, 1
	v_add_co_ci_u32_e64 v12, null, 0, v9, vcc_lo
	s_waitcnt vmcnt(2)
	v_cmp_neq_f32_e32 vcc_lo, 0, v13
	v_cndmask_b32_e32 v8, v8, v11, vcc_lo
	v_cndmask_b32_e32 v9, v9, v12, vcc_lo
	;; [unrolled: 6-line block ×4, first 2 shown]
	v_mov_b32_e32 v17, v9
	v_mov_b32_e32 v16, v8
	;; [unrolled: 1-line block ×8, first 2 shown]
	s_branch .LBB16_2
.LBB16_27:
	s_or_b32 exec_lo, exec_lo, s19
.LBB16_28:
	s_or_b32 exec_lo, exec_lo, s18
	s_sub_i32 s0, s10, s11
	s_cmp_lt_i32 s0, 1
	s_cbranch_scc1 .LBB16_134
; %bb.29:
	v_mov_b32_e32 v1, 0
	v_ashrrev_i32_e32 v19, 31, v18
	s_cmp_lg_u32 s8, 1
	s_cselect_b32 s1, -1, 0
	v_lshlrev_b64 v[10:11], 2, v[0:1]
	v_add_co_u32 v1, s0, s12, v10
	v_add_co_ci_u32_e64 v27, null, s13, v11, s0
	s_mov_b32 s0, exec_lo
	v_cmpx_gt_i32_e64 s9, v18
	s_cbranch_execnz .LBB16_33
; %bb.30:
	s_or_b32 exec_lo, exec_lo, s0
	s_mov_b32 s0, exec_lo
	v_cmpx_gt_i32_e64 s9, v26
	s_cbranch_execnz .LBB16_58
.LBB16_31:
	s_or_b32 exec_lo, exec_lo, s0
	s_mov_b32 s0, exec_lo
	v_cmpx_gt_i32_e64 s9, v25
	s_cbranch_execnz .LBB16_83
.LBB16_32:
	s_or_b32 exec_lo, exec_lo, s0
	s_mov_b32 s2, exec_lo
	v_cmpx_gt_i32_e64 s9, v24
	s_cbranch_execnz .LBB16_108
	s_branch .LBB16_133
.LBB16_33:
	v_mul_lo_u32 v12, s15, v18
	v_mul_lo_u32 v13, s14, v19
	v_mad_u64_u32 v[10:11], null, s14, v18, 0
	s_mov_b32 s2, exec_lo
	v_add3_u32 v11, v11, v13, v12
	v_lshlrev_b64 v[12:13], 2, v[18:19]
	v_lshlrev_b64 v[10:11], 2, v[10:11]
	v_add_co_u32 v28, vcc_lo, s12, v12
	v_add_co_ci_u32_e64 v29, null, s13, v13, vcc_lo
	v_add_co_u32 v20, vcc_lo, v1, v10
	v_add_co_ci_u32_e64 v21, null, v27, v11, vcc_lo
	v_cmpx_gt_i32_e64 s10, v0
	s_cbranch_execz .LBB16_39
; %bb.34:
	s_and_b32 vcc_lo, exec_lo, s1
	s_cbranch_vccz .LBB16_36
; %bb.35:
	global_load_dword v10, v[20:21], off
	s_waitcnt vmcnt(0)
	v_cmp_neq_f32_e32 vcc_lo, 0, v10
	v_cndmask_b32_e64 v10, 0, 1, vcc_lo
	v_add_co_u32 v30, vcc_lo, v2, v10
	v_add_co_ci_u32_e64 v31, null, 0, v3, vcc_lo
	v_mov_b32_e32 v17, v9
	v_mov_b32_e32 v11, v3
	v_mov_b32_e32 v10, v2
	v_mov_b32_e32 v16, v8
	v_mov_b32_e32 v15, v7
	v_mov_b32_e32 v14, v6
	v_mov_b32_e32 v13, v5
	v_mov_b32_e32 v12, v4
	v_mov_b32_e32 v10, v30
	v_mov_b32_e32 v11, v31
	s_cbranch_execz .LBB16_37
	s_branch .LBB16_38
.LBB16_36:
                                        ; implicit-def: $vgpr10_vgpr11_vgpr12_vgpr13_vgpr14_vgpr15_vgpr16_vgpr17
.LBB16_37:
	v_mad_u64_u32 v[10:11], null, s14, v0, 0
	v_mad_u64_u32 v[11:12], null, s15, v0, v[11:12]
	v_lshlrev_b64 v[10:11], 2, v[10:11]
	v_add_co_u32 v10, vcc_lo, v28, v10
	v_add_co_ci_u32_e64 v11, null, v29, v11, vcc_lo
	global_load_dword v10, v[10:11], off
	s_waitcnt vmcnt(0)
	v_cmp_neq_f32_e32 vcc_lo, 0, v10
	v_cndmask_b32_e64 v10, 0, 1, vcc_lo
	v_add_co_u32 v2, vcc_lo, v2, v10
	v_add_co_ci_u32_e64 v3, null, 0, v3, vcc_lo
	v_mov_b32_e32 v17, v9
	v_mov_b32_e32 v16, v8
	;; [unrolled: 1-line block ×8, first 2 shown]
.LBB16_38:
	v_mov_b32_e32 v2, v10
	v_mov_b32_e32 v3, v11
	;; [unrolled: 1-line block ×8, first 2 shown]
.LBB16_39:
	s_or_b32 exec_lo, exec_lo, s2
	v_or_b32_e32 v30, 1, v0
	s_mov_b32 s2, exec_lo
	v_cmpx_gt_i32_e64 s10, v30
	s_cbranch_execz .LBB16_45
; %bb.40:
	s_andn2_b32 vcc_lo, exec_lo, s1
	s_cbranch_vccnz .LBB16_42
; %bb.41:
	global_load_dword v10, v[20:21], off offset:4
	s_waitcnt vmcnt(0)
	v_cmp_neq_f32_e32 vcc_lo, 0, v10
	v_cndmask_b32_e64 v10, 0, 1, vcc_lo
	v_add_co_u32 v31, vcc_lo, v2, v10
	v_add_co_ci_u32_e64 v32, null, 0, v3, vcc_lo
	v_mov_b32_e32 v17, v9
	v_mov_b32_e32 v11, v3
	v_mov_b32_e32 v10, v2
	v_mov_b32_e32 v16, v8
	v_mov_b32_e32 v15, v7
	v_mov_b32_e32 v14, v6
	v_mov_b32_e32 v13, v5
	v_mov_b32_e32 v12, v4
	v_mov_b32_e32 v10, v31
	v_mov_b32_e32 v11, v32
	s_cbranch_execz .LBB16_43
	s_branch .LBB16_44
.LBB16_42:
                                        ; implicit-def: $vgpr10_vgpr11_vgpr12_vgpr13_vgpr14_vgpr15_vgpr16_vgpr17
.LBB16_43:
	v_mad_u64_u32 v[10:11], null, s14, v30, 0
	v_mad_u64_u32 v[11:12], null, s15, v30, v[11:12]
	v_lshlrev_b64 v[10:11], 2, v[10:11]
	v_add_co_u32 v10, vcc_lo, v28, v10
	v_add_co_ci_u32_e64 v11, null, v29, v11, vcc_lo
	global_load_dword v10, v[10:11], off
	s_waitcnt vmcnt(0)
	v_cmp_neq_f32_e32 vcc_lo, 0, v10
	v_cndmask_b32_e64 v10, 0, 1, vcc_lo
	v_add_co_u32 v2, vcc_lo, v2, v10
	v_add_co_ci_u32_e64 v3, null, 0, v3, vcc_lo
	v_mov_b32_e32 v17, v9
	v_mov_b32_e32 v16, v8
	v_mov_b32_e32 v15, v7
	v_mov_b32_e32 v14, v6
	v_mov_b32_e32 v13, v5
	v_mov_b32_e32 v12, v4
	v_mov_b32_e32 v11, v3
	v_mov_b32_e32 v10, v2
.LBB16_44:
	v_mov_b32_e32 v2, v10
	v_mov_b32_e32 v3, v11
	v_mov_b32_e32 v4, v12
	v_mov_b32_e32 v5, v13
	v_mov_b32_e32 v6, v14
	v_mov_b32_e32 v7, v15
	v_mov_b32_e32 v8, v16
	v_mov_b32_e32 v9, v17
.LBB16_45:
	s_or_b32 exec_lo, exec_lo, s2
	v_or_b32_e32 v30, 2, v0
	s_mov_b32 s2, exec_lo
	v_cmpx_gt_i32_e64 s10, v30
	s_cbranch_execz .LBB16_51
; %bb.46:
	s_andn2_b32 vcc_lo, exec_lo, s1
	s_cbranch_vccnz .LBB16_48
; %bb.47:
	global_load_dword v10, v[20:21], off offset:8
	s_waitcnt vmcnt(0)
	v_cmp_neq_f32_e32 vcc_lo, 0, v10
	v_cndmask_b32_e64 v10, 0, 1, vcc_lo
	v_add_co_u32 v31, vcc_lo, v2, v10
	v_add_co_ci_u32_e64 v32, null, 0, v3, vcc_lo
	v_mov_b32_e32 v17, v9
	v_mov_b32_e32 v11, v3
	v_mov_b32_e32 v10, v2
	v_mov_b32_e32 v16, v8
	v_mov_b32_e32 v15, v7
	v_mov_b32_e32 v14, v6
	v_mov_b32_e32 v13, v5
	v_mov_b32_e32 v12, v4
	v_mov_b32_e32 v10, v31
	v_mov_b32_e32 v11, v32
	s_cbranch_execz .LBB16_49
	s_branch .LBB16_50
.LBB16_48:
                                        ; implicit-def: $vgpr10_vgpr11_vgpr12_vgpr13_vgpr14_vgpr15_vgpr16_vgpr17
.LBB16_49:
	v_mad_u64_u32 v[10:11], null, s14, v30, 0
	v_mad_u64_u32 v[11:12], null, s15, v30, v[11:12]
	v_lshlrev_b64 v[10:11], 2, v[10:11]
	v_add_co_u32 v10, vcc_lo, v28, v10
	v_add_co_ci_u32_e64 v11, null, v29, v11, vcc_lo
	global_load_dword v10, v[10:11], off
	s_waitcnt vmcnt(0)
	v_cmp_neq_f32_e32 vcc_lo, 0, v10
	v_cndmask_b32_e64 v10, 0, 1, vcc_lo
	v_add_co_u32 v2, vcc_lo, v2, v10
	v_add_co_ci_u32_e64 v3, null, 0, v3, vcc_lo
	v_mov_b32_e32 v17, v9
	v_mov_b32_e32 v16, v8
	v_mov_b32_e32 v15, v7
	v_mov_b32_e32 v14, v6
	v_mov_b32_e32 v13, v5
	v_mov_b32_e32 v12, v4
	v_mov_b32_e32 v11, v3
	v_mov_b32_e32 v10, v2
.LBB16_50:
	v_mov_b32_e32 v2, v10
	v_mov_b32_e32 v3, v11
	v_mov_b32_e32 v4, v12
	v_mov_b32_e32 v5, v13
	v_mov_b32_e32 v6, v14
	v_mov_b32_e32 v7, v15
	v_mov_b32_e32 v8, v16
	v_mov_b32_e32 v9, v17
.LBB16_51:
	;; [unrolled: 59-line block ×3, first 2 shown]
	s_or_b32 exec_lo, exec_lo, s2
	s_or_b32 exec_lo, exec_lo, s0
	s_mov_b32 s0, exec_lo
	v_cmpx_gt_i32_e64 s9, v26
	s_cbranch_execz .LBB16_31
.LBB16_58:
	v_ashrrev_i32_e32 v12, 31, v26
	v_mul_lo_u32 v13, s15, v26
	v_mad_u64_u32 v[10:11], null, s14, v26, 0
	s_mov_b32 s2, exec_lo
	v_mul_lo_u32 v12, s14, v12
	v_add3_u32 v11, v11, v12, v13
	v_lshlrev_b64 v[12:13], 2, v[18:19]
	v_lshlrev_b64 v[10:11], 2, v[10:11]
	v_add_co_u32 v26, vcc_lo, s12, v12
	v_add_co_ci_u32_e64 v28, null, s13, v13, vcc_lo
	v_add_co_u32 v20, vcc_lo, v1, v10
	v_add_co_ci_u32_e64 v21, null, v27, v11, vcc_lo
	v_cmpx_gt_i32_e64 s10, v0
	s_cbranch_execz .LBB16_64
; %bb.59:
	s_andn2_b32 vcc_lo, exec_lo, s1
	s_cbranch_vccnz .LBB16_61
; %bb.60:
	global_load_dword v10, v[20:21], off
	s_waitcnt vmcnt(0)
	v_cmp_neq_f32_e32 vcc_lo, 0, v10
	v_cndmask_b32_e64 v10, 0, 1, vcc_lo
	v_add_co_u32 v29, vcc_lo, v4, v10
	v_add_co_ci_u32_e64 v30, null, 0, v5, vcc_lo
	v_mov_b32_e32 v17, v9
	v_mov_b32_e32 v13, v5
	;; [unrolled: 1-line block ×10, first 2 shown]
	s_cbranch_execz .LBB16_62
	s_branch .LBB16_63
.LBB16_61:
                                        ; implicit-def: $vgpr10_vgpr11_vgpr12_vgpr13_vgpr14_vgpr15_vgpr16_vgpr17
.LBB16_62:
	v_mad_u64_u32 v[10:11], null, s14, v0, 0
	v_mad_u64_u32 v[11:12], null, s15, v0, v[11:12]
	v_lshlrev_b64 v[10:11], 2, v[10:11]
	v_add_co_u32 v10, vcc_lo, v26, v10
	v_add_co_ci_u32_e64 v11, null, v28, v11, vcc_lo
	global_load_dword v10, v[10:11], off offset:256
	s_waitcnt vmcnt(0)
	v_cmp_neq_f32_e32 vcc_lo, 0, v10
	v_cndmask_b32_e64 v10, 0, 1, vcc_lo
	v_add_co_u32 v4, vcc_lo, v4, v10
	v_add_co_ci_u32_e64 v5, null, 0, v5, vcc_lo
	v_mov_b32_e32 v17, v9
	v_mov_b32_e32 v16, v8
	;; [unrolled: 1-line block ×8, first 2 shown]
.LBB16_63:
	v_mov_b32_e32 v2, v10
	v_mov_b32_e32 v3, v11
	;; [unrolled: 1-line block ×8, first 2 shown]
.LBB16_64:
	s_or_b32 exec_lo, exec_lo, s2
	v_or_b32_e32 v29, 1, v0
	s_mov_b32 s2, exec_lo
	v_cmpx_gt_i32_e64 s10, v29
	s_cbranch_execz .LBB16_70
; %bb.65:
	s_andn2_b32 vcc_lo, exec_lo, s1
	s_cbranch_vccnz .LBB16_67
; %bb.66:
	global_load_dword v10, v[20:21], off offset:4
	s_waitcnt vmcnt(0)
	v_cmp_neq_f32_e32 vcc_lo, 0, v10
	v_cndmask_b32_e64 v10, 0, 1, vcc_lo
	v_add_co_u32 v30, vcc_lo, v4, v10
	v_add_co_ci_u32_e64 v31, null, 0, v5, vcc_lo
	v_mov_b32_e32 v17, v9
	v_mov_b32_e32 v13, v5
	v_mov_b32_e32 v12, v4
	v_mov_b32_e32 v16, v8
	v_mov_b32_e32 v15, v7
	v_mov_b32_e32 v14, v6
	v_mov_b32_e32 v11, v3
	v_mov_b32_e32 v10, v2
	v_mov_b32_e32 v12, v30
	v_mov_b32_e32 v13, v31
	s_cbranch_execz .LBB16_68
	s_branch .LBB16_69
.LBB16_67:
                                        ; implicit-def: $vgpr10_vgpr11_vgpr12_vgpr13_vgpr14_vgpr15_vgpr16_vgpr17
.LBB16_68:
	v_mad_u64_u32 v[10:11], null, s14, v29, 0
	v_mad_u64_u32 v[11:12], null, s15, v29, v[11:12]
	v_lshlrev_b64 v[10:11], 2, v[10:11]
	v_add_co_u32 v10, vcc_lo, v26, v10
	v_add_co_ci_u32_e64 v11, null, v28, v11, vcc_lo
	global_load_dword v10, v[10:11], off offset:256
	s_waitcnt vmcnt(0)
	v_cmp_neq_f32_e32 vcc_lo, 0, v10
	v_cndmask_b32_e64 v10, 0, 1, vcc_lo
	v_add_co_u32 v4, vcc_lo, v4, v10
	v_add_co_ci_u32_e64 v5, null, 0, v5, vcc_lo
	v_mov_b32_e32 v17, v9
	v_mov_b32_e32 v16, v8
	v_mov_b32_e32 v15, v7
	v_mov_b32_e32 v14, v6
	v_mov_b32_e32 v13, v5
	v_mov_b32_e32 v12, v4
	v_mov_b32_e32 v11, v3
	v_mov_b32_e32 v10, v2
.LBB16_69:
	v_mov_b32_e32 v2, v10
	v_mov_b32_e32 v3, v11
	v_mov_b32_e32 v4, v12
	v_mov_b32_e32 v5, v13
	v_mov_b32_e32 v6, v14
	v_mov_b32_e32 v7, v15
	v_mov_b32_e32 v8, v16
	v_mov_b32_e32 v9, v17
.LBB16_70:
	s_or_b32 exec_lo, exec_lo, s2
	v_or_b32_e32 v29, 2, v0
	s_mov_b32 s2, exec_lo
	v_cmpx_gt_i32_e64 s10, v29
	s_cbranch_execz .LBB16_76
; %bb.71:
	s_andn2_b32 vcc_lo, exec_lo, s1
	s_cbranch_vccnz .LBB16_73
; %bb.72:
	global_load_dword v10, v[20:21], off offset:8
	s_waitcnt vmcnt(0)
	v_cmp_neq_f32_e32 vcc_lo, 0, v10
	v_cndmask_b32_e64 v10, 0, 1, vcc_lo
	v_add_co_u32 v30, vcc_lo, v4, v10
	v_add_co_ci_u32_e64 v31, null, 0, v5, vcc_lo
	v_mov_b32_e32 v17, v9
	v_mov_b32_e32 v13, v5
	v_mov_b32_e32 v12, v4
	v_mov_b32_e32 v16, v8
	v_mov_b32_e32 v15, v7
	v_mov_b32_e32 v14, v6
	v_mov_b32_e32 v11, v3
	v_mov_b32_e32 v10, v2
	v_mov_b32_e32 v12, v30
	v_mov_b32_e32 v13, v31
	s_cbranch_execz .LBB16_74
	s_branch .LBB16_75
.LBB16_73:
                                        ; implicit-def: $vgpr10_vgpr11_vgpr12_vgpr13_vgpr14_vgpr15_vgpr16_vgpr17
.LBB16_74:
	v_mad_u64_u32 v[10:11], null, s14, v29, 0
	v_mad_u64_u32 v[11:12], null, s15, v29, v[11:12]
	v_lshlrev_b64 v[10:11], 2, v[10:11]
	v_add_co_u32 v10, vcc_lo, v26, v10
	v_add_co_ci_u32_e64 v11, null, v28, v11, vcc_lo
	global_load_dword v10, v[10:11], off offset:256
	s_waitcnt vmcnt(0)
	v_cmp_neq_f32_e32 vcc_lo, 0, v10
	v_cndmask_b32_e64 v10, 0, 1, vcc_lo
	v_add_co_u32 v4, vcc_lo, v4, v10
	v_add_co_ci_u32_e64 v5, null, 0, v5, vcc_lo
	v_mov_b32_e32 v17, v9
	v_mov_b32_e32 v16, v8
	v_mov_b32_e32 v15, v7
	v_mov_b32_e32 v14, v6
	v_mov_b32_e32 v13, v5
	v_mov_b32_e32 v12, v4
	v_mov_b32_e32 v11, v3
	v_mov_b32_e32 v10, v2
.LBB16_75:
	v_mov_b32_e32 v2, v10
	v_mov_b32_e32 v3, v11
	v_mov_b32_e32 v4, v12
	v_mov_b32_e32 v5, v13
	v_mov_b32_e32 v6, v14
	v_mov_b32_e32 v7, v15
	v_mov_b32_e32 v8, v16
	v_mov_b32_e32 v9, v17
.LBB16_76:
	;; [unrolled: 59-line block ×3, first 2 shown]
	s_or_b32 exec_lo, exec_lo, s2
	s_or_b32 exec_lo, exec_lo, s0
	s_mov_b32 s0, exec_lo
	v_cmpx_gt_i32_e64 s9, v25
	s_cbranch_execz .LBB16_32
.LBB16_83:
	v_ashrrev_i32_e32 v12, 31, v25
	v_mul_lo_u32 v13, s15, v25
	v_mad_u64_u32 v[10:11], null, s14, v25, 0
	s_mov_b32 s2, exec_lo
	v_mul_lo_u32 v12, s14, v12
	v_add3_u32 v11, v11, v12, v13
	v_lshlrev_b64 v[12:13], 2, v[18:19]
	v_lshlrev_b64 v[10:11], 2, v[10:11]
	v_add_co_u32 v25, vcc_lo, s12, v12
	v_add_co_ci_u32_e64 v26, null, s13, v13, vcc_lo
	v_add_co_u32 v20, vcc_lo, v1, v10
	v_add_co_ci_u32_e64 v21, null, v27, v11, vcc_lo
	v_cmpx_gt_i32_e64 s10, v0
	s_cbranch_execz .LBB16_89
; %bb.84:
	s_andn2_b32 vcc_lo, exec_lo, s1
	s_cbranch_vccnz .LBB16_86
; %bb.85:
	global_load_dword v10, v[20:21], off
	s_waitcnt vmcnt(0)
	v_cmp_neq_f32_e32 vcc_lo, 0, v10
	v_cndmask_b32_e64 v10, 0, 1, vcc_lo
	v_add_co_u32 v28, vcc_lo, v6, v10
	v_add_co_ci_u32_e64 v29, null, 0, v7, vcc_lo
	v_mov_b32_e32 v17, v9
	v_mov_b32_e32 v15, v7
	;; [unrolled: 1-line block ×10, first 2 shown]
	s_cbranch_execz .LBB16_87
	s_branch .LBB16_88
.LBB16_86:
                                        ; implicit-def: $vgpr10_vgpr11_vgpr12_vgpr13_vgpr14_vgpr15_vgpr16_vgpr17
.LBB16_87:
	v_mad_u64_u32 v[10:11], null, s14, v0, 0
	v_mad_u64_u32 v[11:12], null, s15, v0, v[11:12]
	v_lshlrev_b64 v[10:11], 2, v[10:11]
	v_add_co_u32 v10, vcc_lo, v25, v10
	v_add_co_ci_u32_e64 v11, null, v26, v11, vcc_lo
	global_load_dword v10, v[10:11], off offset:512
	s_waitcnt vmcnt(0)
	v_cmp_neq_f32_e32 vcc_lo, 0, v10
	v_cndmask_b32_e64 v10, 0, 1, vcc_lo
	v_add_co_u32 v6, vcc_lo, v6, v10
	v_add_co_ci_u32_e64 v7, null, 0, v7, vcc_lo
	v_mov_b32_e32 v17, v9
	v_mov_b32_e32 v16, v8
	;; [unrolled: 1-line block ×8, first 2 shown]
.LBB16_88:
	v_mov_b32_e32 v2, v10
	v_mov_b32_e32 v3, v11
	;; [unrolled: 1-line block ×8, first 2 shown]
.LBB16_89:
	s_or_b32 exec_lo, exec_lo, s2
	v_or_b32_e32 v28, 1, v0
	s_mov_b32 s2, exec_lo
	v_cmpx_gt_i32_e64 s10, v28
	s_cbranch_execz .LBB16_95
; %bb.90:
	s_andn2_b32 vcc_lo, exec_lo, s1
	s_cbranch_vccnz .LBB16_92
; %bb.91:
	global_load_dword v10, v[20:21], off offset:4
	s_waitcnt vmcnt(0)
	v_cmp_neq_f32_e32 vcc_lo, 0, v10
	v_cndmask_b32_e64 v10, 0, 1, vcc_lo
	v_add_co_u32 v29, vcc_lo, v6, v10
	v_add_co_ci_u32_e64 v30, null, 0, v7, vcc_lo
	v_mov_b32_e32 v17, v9
	v_mov_b32_e32 v15, v7
	v_mov_b32_e32 v14, v6
	v_mov_b32_e32 v16, v8
	v_mov_b32_e32 v13, v5
	v_mov_b32_e32 v12, v4
	v_mov_b32_e32 v11, v3
	v_mov_b32_e32 v10, v2
	v_mov_b32_e32 v14, v29
	v_mov_b32_e32 v15, v30
	s_cbranch_execz .LBB16_93
	s_branch .LBB16_94
.LBB16_92:
                                        ; implicit-def: $vgpr10_vgpr11_vgpr12_vgpr13_vgpr14_vgpr15_vgpr16_vgpr17
.LBB16_93:
	v_mad_u64_u32 v[10:11], null, s14, v28, 0
	v_mad_u64_u32 v[11:12], null, s15, v28, v[11:12]
	v_lshlrev_b64 v[10:11], 2, v[10:11]
	v_add_co_u32 v10, vcc_lo, v25, v10
	v_add_co_ci_u32_e64 v11, null, v26, v11, vcc_lo
	global_load_dword v10, v[10:11], off offset:512
	s_waitcnt vmcnt(0)
	v_cmp_neq_f32_e32 vcc_lo, 0, v10
	v_cndmask_b32_e64 v10, 0, 1, vcc_lo
	v_add_co_u32 v6, vcc_lo, v6, v10
	v_add_co_ci_u32_e64 v7, null, 0, v7, vcc_lo
	v_mov_b32_e32 v17, v9
	v_mov_b32_e32 v16, v8
	v_mov_b32_e32 v14, v6
	v_mov_b32_e32 v15, v7
	v_mov_b32_e32 v13, v5
	v_mov_b32_e32 v12, v4
	v_mov_b32_e32 v11, v3
	v_mov_b32_e32 v10, v2
.LBB16_94:
	v_mov_b32_e32 v2, v10
	v_mov_b32_e32 v3, v11
	v_mov_b32_e32 v4, v12
	v_mov_b32_e32 v5, v13
	v_mov_b32_e32 v6, v14
	v_mov_b32_e32 v7, v15
	v_mov_b32_e32 v8, v16
	v_mov_b32_e32 v9, v17
.LBB16_95:
	s_or_b32 exec_lo, exec_lo, s2
	v_or_b32_e32 v28, 2, v0
	s_mov_b32 s2, exec_lo
	v_cmpx_gt_i32_e64 s10, v28
	s_cbranch_execz .LBB16_101
; %bb.96:
	s_andn2_b32 vcc_lo, exec_lo, s1
	s_cbranch_vccnz .LBB16_98
; %bb.97:
	global_load_dword v10, v[20:21], off offset:8
	s_waitcnt vmcnt(0)
	v_cmp_neq_f32_e32 vcc_lo, 0, v10
	v_cndmask_b32_e64 v10, 0, 1, vcc_lo
	v_add_co_u32 v29, vcc_lo, v6, v10
	v_add_co_ci_u32_e64 v30, null, 0, v7, vcc_lo
	v_mov_b32_e32 v17, v9
	v_mov_b32_e32 v15, v7
	v_mov_b32_e32 v14, v6
	v_mov_b32_e32 v16, v8
	v_mov_b32_e32 v13, v5
	v_mov_b32_e32 v12, v4
	v_mov_b32_e32 v11, v3
	v_mov_b32_e32 v10, v2
	v_mov_b32_e32 v14, v29
	v_mov_b32_e32 v15, v30
	s_cbranch_execz .LBB16_99
	s_branch .LBB16_100
.LBB16_98:
                                        ; implicit-def: $vgpr10_vgpr11_vgpr12_vgpr13_vgpr14_vgpr15_vgpr16_vgpr17
.LBB16_99:
	v_mad_u64_u32 v[10:11], null, s14, v28, 0
	v_mad_u64_u32 v[11:12], null, s15, v28, v[11:12]
	v_lshlrev_b64 v[10:11], 2, v[10:11]
	v_add_co_u32 v10, vcc_lo, v25, v10
	v_add_co_ci_u32_e64 v11, null, v26, v11, vcc_lo
	global_load_dword v10, v[10:11], off offset:512
	s_waitcnt vmcnt(0)
	v_cmp_neq_f32_e32 vcc_lo, 0, v10
	v_cndmask_b32_e64 v10, 0, 1, vcc_lo
	v_add_co_u32 v6, vcc_lo, v6, v10
	v_add_co_ci_u32_e64 v7, null, 0, v7, vcc_lo
	v_mov_b32_e32 v17, v9
	v_mov_b32_e32 v16, v8
	v_mov_b32_e32 v14, v6
	v_mov_b32_e32 v15, v7
	v_mov_b32_e32 v13, v5
	v_mov_b32_e32 v12, v4
	v_mov_b32_e32 v11, v3
	v_mov_b32_e32 v10, v2
.LBB16_100:
	v_mov_b32_e32 v2, v10
	v_mov_b32_e32 v3, v11
	v_mov_b32_e32 v4, v12
	v_mov_b32_e32 v5, v13
	v_mov_b32_e32 v6, v14
	v_mov_b32_e32 v7, v15
	v_mov_b32_e32 v8, v16
	v_mov_b32_e32 v9, v17
.LBB16_101:
	;; [unrolled: 59-line block ×3, first 2 shown]
	s_or_b32 exec_lo, exec_lo, s2
	s_or_b32 exec_lo, exec_lo, s0
	s_mov_b32 s2, exec_lo
	v_cmpx_gt_i32_e64 s9, v24
	s_cbranch_execz .LBB16_133
.LBB16_108:
	v_ashrrev_i32_e32 v12, 31, v24
	v_mul_lo_u32 v13, s15, v24
	v_mad_u64_u32 v[10:11], null, s14, v24, 0
	v_mul_lo_u32 v12, s14, v12
	v_add3_u32 v11, v11, v12, v13
	v_lshlrev_b64 v[12:13], 2, v[18:19]
	v_lshlrev_b64 v[10:11], 2, v[10:11]
	v_add_co_u32 v20, s0, s12, v12
	v_add_co_ci_u32_e64 v21, null, s13, v13, s0
	v_add_co_u32 v18, s0, v1, v10
	v_add_co_ci_u32_e64 v19, null, v27, v11, s0
	v_cndmask_b32_e64 v1, 0, 1, s1
	s_mov_b32 s0, exec_lo
	v_cmpx_gt_i32_e64 s10, v0
	s_cbranch_execz .LBB16_114
; %bb.109:
	s_andn2_b32 vcc_lo, exec_lo, s1
	s_cbranch_vccnz .LBB16_111
; %bb.110:
	global_load_dword v10, v[18:19], off
	s_waitcnt vmcnt(0)
	v_cmp_neq_f32_e32 vcc_lo, 0, v10
	v_cndmask_b32_e64 v10, 0, 1, vcc_lo
	v_add_co_u32 v24, vcc_lo, v8, v10
	v_add_co_ci_u32_e64 v25, null, 0, v9, vcc_lo
	v_mov_b32_e32 v17, v9
	v_mov_b32_e32 v16, v8
	;; [unrolled: 1-line block ×10, first 2 shown]
	s_cbranch_execz .LBB16_112
	s_branch .LBB16_113
.LBB16_111:
                                        ; implicit-def: $vgpr10_vgpr11_vgpr12_vgpr13_vgpr14_vgpr15_vgpr16_vgpr17
.LBB16_112:
	v_mad_u64_u32 v[10:11], null, s14, v0, 0
	v_mad_u64_u32 v[11:12], null, s15, v0, v[11:12]
	v_lshlrev_b64 v[10:11], 2, v[10:11]
	v_add_co_u32 v10, vcc_lo, v20, v10
	v_add_co_ci_u32_e64 v11, null, v21, v11, vcc_lo
	global_load_dword v10, v[10:11], off offset:768
	s_waitcnt vmcnt(0)
	v_cmp_neq_f32_e32 vcc_lo, 0, v10
	v_cndmask_b32_e64 v10, 0, 1, vcc_lo
	v_add_co_u32 v8, vcc_lo, v8, v10
	v_add_co_ci_u32_e64 v9, null, 0, v9, vcc_lo
	v_mov_b32_e32 v17, v9
	v_mov_b32_e32 v16, v8
	;; [unrolled: 1-line block ×8, first 2 shown]
.LBB16_113:
	v_mov_b32_e32 v2, v10
	v_mov_b32_e32 v3, v11
	;; [unrolled: 1-line block ×8, first 2 shown]
.LBB16_114:
	s_or_b32 exec_lo, exec_lo, s0
	v_or_b32_e32 v24, 1, v0
	s_mov_b32 s0, exec_lo
	v_cmpx_gt_i32_e64 s10, v24
	s_cbranch_execz .LBB16_120
; %bb.115:
	v_cmp_ne_u32_e32 vcc_lo, 1, v1
	s_cbranch_vccnz .LBB16_117
; %bb.116:
	global_load_dword v10, v[18:19], off offset:4
	s_waitcnt vmcnt(0)
	v_cmp_neq_f32_e32 vcc_lo, 0, v10
	v_cndmask_b32_e64 v10, 0, 1, vcc_lo
	v_add_co_u32 v25, vcc_lo, v8, v10
	v_add_co_ci_u32_e64 v26, null, 0, v9, vcc_lo
	v_mov_b32_e32 v17, v9
	v_mov_b32_e32 v16, v8
	;; [unrolled: 1-line block ×10, first 2 shown]
	s_cbranch_execz .LBB16_118
	s_branch .LBB16_119
.LBB16_117:
                                        ; implicit-def: $vgpr10_vgpr11_vgpr12_vgpr13_vgpr14_vgpr15_vgpr16_vgpr17
.LBB16_118:
	v_mad_u64_u32 v[10:11], null, s14, v24, 0
	v_mad_u64_u32 v[11:12], null, s15, v24, v[11:12]
	v_lshlrev_b64 v[10:11], 2, v[10:11]
	v_add_co_u32 v10, vcc_lo, v20, v10
	v_add_co_ci_u32_e64 v11, null, v21, v11, vcc_lo
	global_load_dword v10, v[10:11], off offset:768
	s_waitcnt vmcnt(0)
	v_cmp_neq_f32_e32 vcc_lo, 0, v10
	v_cndmask_b32_e64 v10, 0, 1, vcc_lo
	v_add_co_u32 v8, vcc_lo, v8, v10
	v_add_co_ci_u32_e64 v9, null, 0, v9, vcc_lo
	v_mov_b32_e32 v17, v9
	v_mov_b32_e32 v16, v8
	;; [unrolled: 1-line block ×8, first 2 shown]
.LBB16_119:
	v_mov_b32_e32 v2, v10
	v_mov_b32_e32 v3, v11
	;; [unrolled: 1-line block ×8, first 2 shown]
.LBB16_120:
	s_or_b32 exec_lo, exec_lo, s0
	v_or_b32_e32 v24, 2, v0
	s_mov_b32 s0, exec_lo
	v_cmpx_gt_i32_e64 s10, v24
	s_cbranch_execz .LBB16_126
; %bb.121:
	v_cmp_ne_u32_e32 vcc_lo, 1, v1
	s_cbranch_vccnz .LBB16_123
; %bb.122:
	global_load_dword v10, v[18:19], off offset:8
	s_waitcnt vmcnt(0)
	v_cmp_neq_f32_e32 vcc_lo, 0, v10
	v_cndmask_b32_e64 v10, 0, 1, vcc_lo
	v_add_co_u32 v25, vcc_lo, v8, v10
	v_add_co_ci_u32_e64 v26, null, 0, v9, vcc_lo
	v_mov_b32_e32 v17, v9
	v_mov_b32_e32 v16, v8
	;; [unrolled: 1-line block ×10, first 2 shown]
	s_cbranch_execz .LBB16_124
	s_branch .LBB16_125
.LBB16_123:
                                        ; implicit-def: $vgpr10_vgpr11_vgpr12_vgpr13_vgpr14_vgpr15_vgpr16_vgpr17
.LBB16_124:
	v_mad_u64_u32 v[10:11], null, s14, v24, 0
	v_mad_u64_u32 v[11:12], null, s15, v24, v[11:12]
	v_lshlrev_b64 v[10:11], 2, v[10:11]
	v_add_co_u32 v10, vcc_lo, v20, v10
	v_add_co_ci_u32_e64 v11, null, v21, v11, vcc_lo
	global_load_dword v10, v[10:11], off offset:768
	s_waitcnt vmcnt(0)
	v_cmp_neq_f32_e32 vcc_lo, 0, v10
	v_cndmask_b32_e64 v10, 0, 1, vcc_lo
	v_add_co_u32 v8, vcc_lo, v8, v10
	v_add_co_ci_u32_e64 v9, null, 0, v9, vcc_lo
	v_mov_b32_e32 v17, v9
	v_mov_b32_e32 v16, v8
	;; [unrolled: 1-line block ×8, first 2 shown]
.LBB16_125:
	v_mov_b32_e32 v2, v10
	v_mov_b32_e32 v3, v11
	;; [unrolled: 1-line block ×8, first 2 shown]
.LBB16_126:
	s_or_b32 exec_lo, exec_lo, s0
	v_or_b32_e32 v0, 3, v0
	s_mov_b32 s0, exec_lo
	v_cmpx_gt_i32_e64 s10, v0
	s_cbranch_execz .LBB16_132
; %bb.127:
	v_cmp_ne_u32_e32 vcc_lo, 1, v1
	s_cbranch_vccnz .LBB16_129
; %bb.128:
	global_load_dword v1, v[18:19], off offset:12
	v_mov_b32_e32 v17, v9
	v_mov_b32_e32 v16, v8
	;; [unrolled: 1-line block ×8, first 2 shown]
	s_waitcnt vmcnt(0)
	v_cmp_neq_f32_e32 vcc_lo, 0, v1
	v_cndmask_b32_e64 v1, 0, 1, vcc_lo
	v_add_co_u32 v1, vcc_lo, v8, v1
	v_add_co_ci_u32_e64 v18, null, 0, v9, vcc_lo
	v_mov_b32_e32 v16, v1
	v_mov_b32_e32 v17, v18
	s_cbranch_execz .LBB16_130
	s_branch .LBB16_131
.LBB16_129:
                                        ; implicit-def: $vgpr10_vgpr11_vgpr12_vgpr13_vgpr14_vgpr15_vgpr16_vgpr17
.LBB16_130:
	v_mad_u64_u32 v[10:11], null, s14, v0, 0
	v_mov_b32_e32 v1, v11
	v_mad_u64_u32 v[0:1], null, s15, v0, v[1:2]
	v_mov_b32_e32 v11, v0
	v_lshlrev_b64 v[0:1], 2, v[10:11]
	v_add_co_u32 v0, vcc_lo, v20, v0
	v_add_co_ci_u32_e64 v1, null, v21, v1, vcc_lo
	global_load_dword v0, v[0:1], off offset:768
	s_waitcnt vmcnt(0)
	v_cmp_neq_f32_e32 vcc_lo, 0, v0
	v_cndmask_b32_e64 v0, 0, 1, vcc_lo
	v_add_co_u32 v8, vcc_lo, v8, v0
	v_add_co_ci_u32_e64 v9, null, 0, v9, vcc_lo
	v_mov_b32_e32 v17, v9
	v_mov_b32_e32 v16, v8
	;; [unrolled: 1-line block ×8, first 2 shown]
.LBB16_131:
	v_mov_b32_e32 v2, v10
	v_mov_b32_e32 v3, v11
	;; [unrolled: 1-line block ×8, first 2 shown]
.LBB16_132:
	s_or_b32 exec_lo, exec_lo, s0
.LBB16_133:
	s_or_b32 exec_lo, exec_lo, s2
.LBB16_134:
	v_lshlrev_b32_e32 v0, 5, v22
	v_lshlrev_b32_e32 v1, 3, v23
	s_mov_b32 s0, exec_lo
	v_and_or_b32 v0, 0xfffff800, v0, v1
	ds_write2st64_b64 v0, v[2:3], v[4:5] offset1:1
	ds_write2st64_b64 v0, v[6:7], v[8:9] offset0:2 offset1:3
	s_waitcnt lgkmcnt(0)
	s_barrier
	buffer_gl0_inv
	v_cmpx_gt_u32_e32 0x100, v22
	s_cbranch_execz .LBB16_137
; %bb.135:
	v_lshlrev_b32_e32 v12, 3, v22
	ds_read2st64_b64 v[0:3], v12 offset1:4
	ds_read2st64_b64 v[4:7], v12 offset0:8 offset1:12
	ds_read2st64_b64 v[8:11], v12 offset0:16 offset1:20
	s_waitcnt lgkmcnt(2)
	v_add_co_u32 v13, vcc_lo, v0, v2
	v_add_co_ci_u32_e64 v14, null, v1, v3, vcc_lo
	ds_read2st64_b64 v[0:3], v12 offset0:24 offset1:28
	s_waitcnt lgkmcnt(2)
	v_add_co_u32 v4, vcc_lo, v13, v4
	v_add_co_ci_u32_e64 v5, null, v14, v5, vcc_lo
	v_add_co_u32 v13, vcc_lo, v4, v6
	v_add_co_ci_u32_e64 v14, null, v5, v7, vcc_lo
	ds_read2st64_b64 v[4:7], v12 offset0:32 offset1:36
	s_waitcnt lgkmcnt(2)
	v_add_co_u32 v8, vcc_lo, v13, v8
	v_add_co_ci_u32_e64 v9, null, v14, v9, vcc_lo
	;; [unrolled: 6-line block ×5, first 2 shown]
	v_add_co_u32 v8, vcc_lo, v8, v10
	v_add_co_ci_u32_e64 v9, null, v9, v11, vcc_lo
	s_waitcnt lgkmcnt(1)
	v_add_co_u32 v0, vcc_lo, v8, v0
	v_add_co_ci_u32_e64 v1, null, v9, v1, vcc_lo
	v_add_co_u32 v0, vcc_lo, v0, v2
	v_add_co_ci_u32_e64 v1, null, v1, v3, vcc_lo
	v_add_nc_u32_e32 v2, s5, v22
	s_waitcnt lgkmcnt(0)
	v_add_co_u32 v0, vcc_lo, v0, v4
	v_add_co_ci_u32_e64 v1, null, v1, v5, vcc_lo
	v_add_co_u32 v0, vcc_lo, v0, v6
	v_add_co_ci_u32_e64 v1, null, v1, v7, vcc_lo
	v_cmp_gt_i32_e32 vcc_lo, s9, v2
	ds_write_b64 v12, v[0:1]
	s_and_b32 exec_lo, exec_lo, vcc_lo
	s_cbranch_execz .LBB16_137
; %bb.136:
	v_ashrrev_i32_e32 v3, 31, v2
	v_lshlrev_b64 v[2:3], 3, v[2:3]
	v_add_co_u32 v2, vcc_lo, s16, v2
	v_add_co_ci_u32_e64 v3, null, s17, v3, vcc_lo
	global_store_dwordx2 v[2:3], v[0:1], off
.LBB16_137:
	s_endpgm
	.section	.rodata,"a",@progbits
	.p2align	6, 0x0
	.amdhsa_kernel _ZN9rocsparseL14nnz_kernel_rowILi64ELi16ElifEEv16rocsparse_order_T2_S2_PKT3_lPT1_
		.amdhsa_group_segment_fixed_size 32768
		.amdhsa_private_segment_fixed_size 0
		.amdhsa_kernarg_size 296
		.amdhsa_user_sgpr_count 6
		.amdhsa_user_sgpr_private_segment_buffer 1
		.amdhsa_user_sgpr_dispatch_ptr 0
		.amdhsa_user_sgpr_queue_ptr 0
		.amdhsa_user_sgpr_kernarg_segment_ptr 1
		.amdhsa_user_sgpr_dispatch_id 0
		.amdhsa_user_sgpr_flat_scratch_init 0
		.amdhsa_user_sgpr_private_segment_size 0
		.amdhsa_wavefront_size32 1
		.amdhsa_uses_dynamic_stack 0
		.amdhsa_system_sgpr_private_segment_wavefront_offset 0
		.amdhsa_system_sgpr_workgroup_id_x 1
		.amdhsa_system_sgpr_workgroup_id_y 0
		.amdhsa_system_sgpr_workgroup_id_z 0
		.amdhsa_system_sgpr_workgroup_info 0
		.amdhsa_system_vgpr_workitem_id 1
		.amdhsa_next_free_vgpr 41
		.amdhsa_next_free_sgpr 22
		.amdhsa_reserve_vcc 1
		.amdhsa_reserve_flat_scratch 0
		.amdhsa_float_round_mode_32 0
		.amdhsa_float_round_mode_16_64 0
		.amdhsa_float_denorm_mode_32 3
		.amdhsa_float_denorm_mode_16_64 3
		.amdhsa_dx10_clamp 1
		.amdhsa_ieee_mode 1
		.amdhsa_fp16_overflow 0
		.amdhsa_workgroup_processor_mode 1
		.amdhsa_memory_ordered 1
		.amdhsa_forward_progress 1
		.amdhsa_shared_vgpr_count 0
		.amdhsa_exception_fp_ieee_invalid_op 0
		.amdhsa_exception_fp_denorm_src 0
		.amdhsa_exception_fp_ieee_div_zero 0
		.amdhsa_exception_fp_ieee_overflow 0
		.amdhsa_exception_fp_ieee_underflow 0
		.amdhsa_exception_fp_ieee_inexact 0
		.amdhsa_exception_int_div_zero 0
	.end_amdhsa_kernel
	.section	.text._ZN9rocsparseL14nnz_kernel_rowILi64ELi16ElifEEv16rocsparse_order_T2_S2_PKT3_lPT1_,"axG",@progbits,_ZN9rocsparseL14nnz_kernel_rowILi64ELi16ElifEEv16rocsparse_order_T2_S2_PKT3_lPT1_,comdat
.Lfunc_end16:
	.size	_ZN9rocsparseL14nnz_kernel_rowILi64ELi16ElifEEv16rocsparse_order_T2_S2_PKT3_lPT1_, .Lfunc_end16-_ZN9rocsparseL14nnz_kernel_rowILi64ELi16ElifEEv16rocsparse_order_T2_S2_PKT3_lPT1_
                                        ; -- End function
	.set _ZN9rocsparseL14nnz_kernel_rowILi64ELi16ElifEEv16rocsparse_order_T2_S2_PKT3_lPT1_.num_vgpr, 41
	.set _ZN9rocsparseL14nnz_kernel_rowILi64ELi16ElifEEv16rocsparse_order_T2_S2_PKT3_lPT1_.num_agpr, 0
	.set _ZN9rocsparseL14nnz_kernel_rowILi64ELi16ElifEEv16rocsparse_order_T2_S2_PKT3_lPT1_.numbered_sgpr, 22
	.set _ZN9rocsparseL14nnz_kernel_rowILi64ELi16ElifEEv16rocsparse_order_T2_S2_PKT3_lPT1_.num_named_barrier, 0
	.set _ZN9rocsparseL14nnz_kernel_rowILi64ELi16ElifEEv16rocsparse_order_T2_S2_PKT3_lPT1_.private_seg_size, 0
	.set _ZN9rocsparseL14nnz_kernel_rowILi64ELi16ElifEEv16rocsparse_order_T2_S2_PKT3_lPT1_.uses_vcc, 1
	.set _ZN9rocsparseL14nnz_kernel_rowILi64ELi16ElifEEv16rocsparse_order_T2_S2_PKT3_lPT1_.uses_flat_scratch, 0
	.set _ZN9rocsparseL14nnz_kernel_rowILi64ELi16ElifEEv16rocsparse_order_T2_S2_PKT3_lPT1_.has_dyn_sized_stack, 0
	.set _ZN9rocsparseL14nnz_kernel_rowILi64ELi16ElifEEv16rocsparse_order_T2_S2_PKT3_lPT1_.has_recursion, 0
	.set _ZN9rocsparseL14nnz_kernel_rowILi64ELi16ElifEEv16rocsparse_order_T2_S2_PKT3_lPT1_.has_indirect_call, 0
	.section	.AMDGPU.csdata,"",@progbits
; Kernel info:
; codeLenInByte = 8104
; TotalNumSgprs: 24
; NumVgprs: 41
; ScratchSize: 0
; MemoryBound: 0
; FloatMode: 240
; IeeeMode: 1
; LDSByteSize: 32768 bytes/workgroup (compile time only)
; SGPRBlocks: 0
; VGPRBlocks: 5
; NumSGPRsForWavesPerEU: 24
; NumVGPRsForWavesPerEU: 41
; Occupancy: 16
; WaveLimiterHint : 0
; COMPUTE_PGM_RSRC2:SCRATCH_EN: 0
; COMPUTE_PGM_RSRC2:USER_SGPR: 6
; COMPUTE_PGM_RSRC2:TRAP_HANDLER: 0
; COMPUTE_PGM_RSRC2:TGID_X_EN: 1
; COMPUTE_PGM_RSRC2:TGID_Y_EN: 0
; COMPUTE_PGM_RSRC2:TGID_Z_EN: 0
; COMPUTE_PGM_RSRC2:TIDIG_COMP_CNT: 1
	.section	.text._ZN9rocsparseL14nnz_kernel_colILi256ElifEEv16rocsparse_order_T1_S2_PKT2_lPT0_,"axG",@progbits,_ZN9rocsparseL14nnz_kernel_colILi256ElifEEv16rocsparse_order_T1_S2_PKT2_lPT0_,comdat
	.globl	_ZN9rocsparseL14nnz_kernel_colILi256ElifEEv16rocsparse_order_T1_S2_PKT2_lPT0_ ; -- Begin function _ZN9rocsparseL14nnz_kernel_colILi256ElifEEv16rocsparse_order_T1_S2_PKT2_lPT0_
	.p2align	8
	.type	_ZN9rocsparseL14nnz_kernel_colILi256ElifEEv16rocsparse_order_T1_S2_PKT2_lPT0_,@function
_ZN9rocsparseL14nnz_kernel_colILi256ElifEEv16rocsparse_order_T1_S2_PKT2_lPT0_: ; @_ZN9rocsparseL14nnz_kernel_colILi256ElifEEv16rocsparse_order_T1_S2_PKT2_lPT0_
; %bb.0:
	s_clause 0x1
	s_load_dwordx2 s[8:9], s[4:5], 0x0
	s_load_dwordx4 s[0:3], s[4:5], 0x10
	s_waitcnt lgkmcnt(0)
	s_ashr_i32 s7, s9, 31
	s_lshr_b32 s7, s7, 24
	s_add_i32 s7, s9, s7
	s_and_b32 s10, s7, 0xffffff00
	s_cmp_eq_u32 s8, 1
	s_cbranch_scc1 .LBB17_6
; %bb.1:
	v_mov_b32_e32 v1, 0
	v_mov_b32_e32 v2, 0
	s_cmpk_lt_i32 s9, 0x100
	s_cbranch_scc1 .LBB17_7
; %bb.2:
	v_mad_u64_u32 v[1:2], null, s2, v0, 0
	s_ashr_i32 s7, s6, 31
	s_lshl_b64 s[12:13], s[6:7], 2
	s_add_u32 s7, s0, s12
	s_addc_u32 s8, s1, s13
	v_mad_u64_u32 v[2:3], null, s3, v0, v[2:3]
	s_lshl_b64 s[12:13], s[2:3], 10
	v_lshlrev_b64 v[3:4], 2, v[1:2]
	v_mov_b32_e32 v1, 0
	v_mov_b32_e32 v2, 0
	v_add_co_u32 v3, vcc_lo, s7, v3
	v_add_co_ci_u32_e64 v4, null, s8, v4, vcc_lo
	s_mov_b32 s7, 0
	s_branch .LBB17_4
	.p2align	6
.LBB17_3:                               ;   in Loop: Header=BB17_4 Depth=1
	s_or_b32 exec_lo, exec_lo, s8
	v_add_co_u32 v3, vcc_lo, v3, s12
	v_add_co_ci_u32_e64 v4, null, s13, v4, vcc_lo
	s_addk_i32 s7, 0x100
	s_cmp_ge_i32 s7, s10
	s_cbranch_scc1 .LBB17_7
.LBB17_4:                               ; =>This Inner Loop Header: Depth=1
	v_add_nc_u32_e32 v5, s7, v0
	s_mov_b32 s8, exec_lo
	v_cmpx_gt_i32_e64 s9, v5
	s_cbranch_execz .LBB17_3
; %bb.5:                                ;   in Loop: Header=BB17_4 Depth=1
	global_load_dword v5, v[3:4], off
	s_waitcnt vmcnt(0)
	v_cmp_neq_f32_e32 vcc_lo, 0, v5
	v_cndmask_b32_e64 v5, 0, 1, vcc_lo
	v_add_co_u32 v1, vcc_lo, v1, v5
	v_add_co_ci_u32_e64 v2, null, 0, v2, vcc_lo
	s_branch .LBB17_3
.LBB17_6:
                                        ; implicit-def: $vgpr1_vgpr2
	s_load_dwordx2 s[4:5], s[4:5], 0x20
	s_cbranch_execnz .LBB17_10
	s_branch .LBB17_16
.LBB17_7:
	v_add_nc_u32_e32 v3, s10, v0
	s_mov_b32 s8, exec_lo
	v_cmpx_gt_i32_e64 s9, v3
	s_cbranch_execz .LBB17_9
; %bb.8:
	v_ashrrev_i32_e32 v5, 31, v3
	v_mul_lo_u32 v6, s3, v3
	v_mad_u64_u32 v[3:4], null, s2, v3, 0
	s_ashr_i32 s7, s6, 31
	v_mul_lo_u32 v5, s2, v5
	s_lshl_b64 s[12:13], s[6:7], 2
	v_add3_u32 v4, v4, v5, v6
	v_lshlrev_b64 v[3:4], 2, v[3:4]
	v_add_co_u32 v3, vcc_lo, s0, v3
	v_add_co_ci_u32_e64 v4, null, s1, v4, vcc_lo
	v_add_co_u32 v3, vcc_lo, v3, s12
	v_add_co_ci_u32_e64 v4, null, s13, v4, vcc_lo
	global_load_dword v3, v[3:4], off
	s_waitcnt vmcnt(0)
	v_cmp_neq_f32_e32 vcc_lo, 0, v3
	v_cndmask_b32_e64 v3, 0, 1, vcc_lo
	v_add_co_u32 v1, vcc_lo, v1, v3
	v_add_co_ci_u32_e64 v2, null, 0, v2, vcc_lo
.LBB17_9:
	s_or_b32 exec_lo, exec_lo, s8
	s_load_dwordx2 s[4:5], s[4:5], 0x20
	s_branch .LBB17_16
.LBB17_10:
	v_cmp_gt_i32_e32 vcc_lo, s9, v0
	s_ashr_i32 s7, s6, 31
	s_mul_hi_u32 s8, s2, s6
	s_mul_i32 s7, s2, s7
	s_mul_i32 s3, s3, s6
	v_cndmask_b32_e32 v1, 0, v0, vcc_lo
	s_add_i32 s7, s8, s7
	s_mul_i32 s2, s2, s6
	s_add_i32 s3, s7, s3
	s_lshl_b64 s[2:3], s[2:3], 2
	v_lshlrev_b32_e32 v3, 2, v1
	s_add_u32 s0, s0, s2
	s_addc_u32 s1, s1, s3
	v_mov_b32_e32 v1, 0
	v_mov_b32_e32 v2, 0
	v_add_co_u32 v3, s0, s0, v3
	v_add_co_ci_u32_e64 v4, null, s1, 0, s0
	s_cmpk_lt_i32 s9, 0x100
	s_mov_b32 s1, 0
	s_cbranch_scc1 .LBB17_13
; %bb.11:
	v_mov_b32_e32 v1, 0
	v_mov_b32_e32 v6, v4
	;; [unrolled: 1-line block ×4, first 2 shown]
	.p2align	6
.LBB17_12:                              ; =>This Inner Loop Header: Depth=1
	global_load_dword v7, v[5:6], off
	v_add_co_u32 v5, vcc_lo, 0x400, v5
	v_add_co_ci_u32_e64 v6, null, 0, v6, vcc_lo
	s_addk_i32 s1, 0x100
	s_cmp_ge_i32 s1, s10
	s_waitcnt vmcnt(0)
	v_cmp_neq_f32_e64 s0, 0, v7
	v_cndmask_b32_e64 v7, 0, 1, s0
	v_add_co_u32 v1, vcc_lo, v1, v7
	v_add_co_ci_u32_e64 v2, null, 0, v2, vcc_lo
	s_cbranch_scc0 .LBB17_12
.LBB17_13:
	v_add_nc_u32_e32 v5, s10, v0
	s_mov_b32 s0, exec_lo
	v_cmpx_gt_i32_e64 s9, v5
	s_cbranch_execz .LBB17_15
; %bb.14:
	s_ashr_i32 s11, s10, 31
	s_lshl_b64 s[2:3], s[10:11], 2
	v_add_co_u32 v3, vcc_lo, v3, s2
	v_add_co_ci_u32_e64 v4, null, s3, v4, vcc_lo
	global_load_dword v3, v[3:4], off
	s_waitcnt vmcnt(0)
	v_cmp_neq_f32_e32 vcc_lo, 0, v3
	v_cndmask_b32_e64 v3, 0, 1, vcc_lo
	v_add_co_u32 v1, vcc_lo, v1, v3
	v_add_co_ci_u32_e64 v2, null, 0, v2, vcc_lo
.LBB17_15:
	s_or_b32 exec_lo, exec_lo, s0
.LBB17_16:
	v_lshlrev_b32_e32 v3, 3, v0
	s_cmpk_lt_i32 s9, 0x100
	s_mov_b32 s0, -1
	v_cmp_eq_u32_e32 vcc_lo, 0, v0
	ds_write_b64 v3, v[1:2]
	s_waitcnt lgkmcnt(0)
	s_cbranch_scc0 .LBB17_27
; %bb.17:
	s_cmp_gt_i32 s9, 1
	s_mov_b32 s2, 1
	s_cselect_b32 s0, -1, 0
	s_barrier
	s_and_b32 s1, vcc_lo, s0
	buffer_gl0_inv
	s_and_saveexec_b32 s0, s1
	s_cbranch_execz .LBB17_26
; %bb.18:
	v_mov_b32_e32 v1, 0
	s_add_i32 s3, s9, -2
	s_add_i32 s1, s9, -1
	s_cmp_lt_u32 s3, 7
	ds_read_b64 v[1:2], v1
	s_cbranch_scc1 .LBB17_22
; %bb.19:
	s_and_b32 s2, s1, -8
	s_mov_b32 s7, 0
	s_mov_b32 s3, 8
	s_inst_prefetch 0x1
	.p2align	6
.LBB17_20:                              ; =>This Inner Loop Header: Depth=1
	v_mov_b32_e32 v16, s3
	s_mov_b32 s8, s7
	s_add_i32 s7, s7, 8
	s_add_i32 s3, s3, 64
	s_cmp_lg_u32 s2, s7
	ds_read2_b64 v[4:7], v16 offset1:1
	ds_read2_b64 v[8:11], v16 offset0:2 offset1:3
	ds_read2_b64 v[12:15], v16 offset0:4 offset1:5
	s_waitcnt lgkmcnt(2)
	v_add_co_u32 v1, vcc_lo, v1, v4
	v_add_co_ci_u32_e64 v2, null, v2, v5, vcc_lo
	v_add_co_u32 v1, vcc_lo, v1, v6
	v_add_co_ci_u32_e64 v2, null, v2, v7, vcc_lo
	ds_read2_b64 v[4:7], v16 offset0:6 offset1:7
	s_waitcnt lgkmcnt(2)
	v_add_co_u32 v1, vcc_lo, v1, v8
	v_add_co_ci_u32_e64 v2, null, v2, v9, vcc_lo
	v_add_co_u32 v1, vcc_lo, v1, v10
	v_add_co_ci_u32_e64 v2, null, v2, v11, vcc_lo
	s_waitcnt lgkmcnt(1)
	v_add_co_u32 v1, vcc_lo, v1, v12
	v_add_co_ci_u32_e64 v2, null, v2, v13, vcc_lo
	v_add_co_u32 v1, vcc_lo, v1, v14
	v_add_co_ci_u32_e64 v2, null, v2, v15, vcc_lo
	;; [unrolled: 5-line block ×3, first 2 shown]
	s_cbranch_scc1 .LBB17_20
; %bb.21:
	s_inst_prefetch 0x2
	s_add_i32 s2, s8, 9
.LBB17_22:
	s_and_b32 s1, s1, 7
	s_cmp_eq_u32 s1, 0
	s_cbranch_scc1 .LBB17_25
; %bb.23:
	s_lshl_b32 s2, s2, 3
.LBB17_24:                              ; =>This Inner Loop Header: Depth=1
	v_mov_b32_e32 v4, s2
	s_add_i32 s1, s1, -1
	s_add_i32 s2, s2, 8
	s_cmp_lg_u32 s1, 0
	ds_read_b64 v[4:5], v4
	s_waitcnt lgkmcnt(0)
	v_add_co_u32 v1, vcc_lo, v1, v4
	v_add_co_ci_u32_e64 v2, null, v2, v5, vcc_lo
	s_cbranch_scc1 .LBB17_24
.LBB17_25:
	v_mov_b32_e32 v4, 0
	s_waitcnt lgkmcnt(0)
	ds_write_b64 v4, v[1:2]
.LBB17_26:
	s_or_b32 exec_lo, exec_lo, s0
	s_mov_b32 s0, 0
	s_waitcnt lgkmcnt(0)
	s_barrier
.LBB17_27:
	s_and_b32 vcc_lo, exec_lo, s0
	s_cbranch_vccz .LBB17_45
; %bb.28:
	s_mov_b32 s0, exec_lo
	s_barrier
	buffer_gl0_inv
	v_cmpx_gt_u32_e32 0x80, v0
	s_cbranch_execz .LBB17_30
; %bb.29:
	ds_read2st64_b64 v[4:7], v3 offset1:2
	s_waitcnt lgkmcnt(0)
	v_add_co_u32 v1, vcc_lo, v4, v6
	v_add_co_ci_u32_e64 v2, null, v5, v7, vcc_lo
	ds_write_b64 v3, v[1:2]
.LBB17_30:
	s_or_b32 exec_lo, exec_lo, s0
	s_mov_b32 s0, exec_lo
	s_waitcnt lgkmcnt(0)
	s_barrier
	buffer_gl0_inv
	v_cmpx_gt_u32_e32 64, v0
	s_cbranch_execz .LBB17_32
; %bb.31:
	ds_read2st64_b64 v[4:7], v3 offset1:1
	s_waitcnt lgkmcnt(0)
	v_add_co_u32 v1, vcc_lo, v4, v6
	v_add_co_ci_u32_e64 v2, null, v5, v7, vcc_lo
	ds_write_b64 v3, v[1:2]
.LBB17_32:
	s_or_b32 exec_lo, exec_lo, s0
	s_mov_b32 s0, exec_lo
	s_waitcnt lgkmcnt(0)
	s_barrier
	buffer_gl0_inv
	v_cmpx_gt_u32_e32 32, v0
	s_cbranch_execz .LBB17_34
; %bb.33:
	ds_read2_b64 v[4:7], v3 offset1:32
	s_waitcnt lgkmcnt(0)
	v_add_co_u32 v1, vcc_lo, v4, v6
	v_add_co_ci_u32_e64 v2, null, v5, v7, vcc_lo
	ds_write_b64 v3, v[1:2]
.LBB17_34:
	s_or_b32 exec_lo, exec_lo, s0
	s_mov_b32 s0, exec_lo
	s_waitcnt lgkmcnt(0)
	s_barrier
	buffer_gl0_inv
	v_cmpx_gt_u32_e32 16, v0
	s_cbranch_execz .LBB17_36
; %bb.35:
	ds_read2_b64 v[4:7], v3 offset1:16
	s_waitcnt lgkmcnt(0)
	v_add_co_u32 v1, vcc_lo, v4, v6
	v_add_co_ci_u32_e64 v2, null, v5, v7, vcc_lo
	ds_write_b64 v3, v[1:2]
.LBB17_36:
	;; [unrolled: 14-line block ×5, first 2 shown]
	s_or_b32 exec_lo, exec_lo, s0
	s_mov_b32 s0, exec_lo
	s_waitcnt lgkmcnt(0)
	s_barrier
	buffer_gl0_inv
	v_cmpx_eq_u32_e32 0, v0
	s_cbranch_execz .LBB17_44
; %bb.43:
	v_mov_b32_e32 v5, 0
	ds_read_b128 v[1:4], v5
	s_waitcnt lgkmcnt(0)
	v_add_co_u32 v1, vcc_lo, v1, v3
	v_add_co_ci_u32_e64 v2, null, v2, v4, vcc_lo
	ds_write_b64 v5, v[1:2]
.LBB17_44:
	s_or_b32 exec_lo, exec_lo, s0
	s_waitcnt lgkmcnt(0)
	s_barrier
.LBB17_45:
	buffer_gl0_inv
	s_mov_b32 s0, exec_lo
	v_cmpx_eq_u32_e32 0, v0
	s_cbranch_execz .LBB17_47
; %bb.46:
	v_mov_b32_e32 v2, 0
	s_ashr_i32 s7, s6, 31
	s_lshl_b64 s[0:1], s[6:7], 3
	s_add_u32 s0, s4, s0
	ds_read_b64 v[0:1], v2
	s_addc_u32 s1, s5, s1
	s_waitcnt lgkmcnt(0)
	global_store_dwordx2 v2, v[0:1], s[0:1]
.LBB17_47:
	s_endpgm
	.section	.rodata,"a",@progbits
	.p2align	6, 0x0
	.amdhsa_kernel _ZN9rocsparseL14nnz_kernel_colILi256ElifEEv16rocsparse_order_T1_S2_PKT2_lPT0_
		.amdhsa_group_segment_fixed_size 2048
		.amdhsa_private_segment_fixed_size 0
		.amdhsa_kernarg_size 40
		.amdhsa_user_sgpr_count 6
		.amdhsa_user_sgpr_private_segment_buffer 1
		.amdhsa_user_sgpr_dispatch_ptr 0
		.amdhsa_user_sgpr_queue_ptr 0
		.amdhsa_user_sgpr_kernarg_segment_ptr 1
		.amdhsa_user_sgpr_dispatch_id 0
		.amdhsa_user_sgpr_flat_scratch_init 0
		.amdhsa_user_sgpr_private_segment_size 0
		.amdhsa_wavefront_size32 1
		.amdhsa_uses_dynamic_stack 0
		.amdhsa_system_sgpr_private_segment_wavefront_offset 0
		.amdhsa_system_sgpr_workgroup_id_x 1
		.amdhsa_system_sgpr_workgroup_id_y 0
		.amdhsa_system_sgpr_workgroup_id_z 0
		.amdhsa_system_sgpr_workgroup_info 0
		.amdhsa_system_vgpr_workitem_id 0
		.amdhsa_next_free_vgpr 17
		.amdhsa_next_free_sgpr 14
		.amdhsa_reserve_vcc 1
		.amdhsa_reserve_flat_scratch 0
		.amdhsa_float_round_mode_32 0
		.amdhsa_float_round_mode_16_64 0
		.amdhsa_float_denorm_mode_32 3
		.amdhsa_float_denorm_mode_16_64 3
		.amdhsa_dx10_clamp 1
		.amdhsa_ieee_mode 1
		.amdhsa_fp16_overflow 0
		.amdhsa_workgroup_processor_mode 1
		.amdhsa_memory_ordered 1
		.amdhsa_forward_progress 1
		.amdhsa_shared_vgpr_count 0
		.amdhsa_exception_fp_ieee_invalid_op 0
		.amdhsa_exception_fp_denorm_src 0
		.amdhsa_exception_fp_ieee_div_zero 0
		.amdhsa_exception_fp_ieee_overflow 0
		.amdhsa_exception_fp_ieee_underflow 0
		.amdhsa_exception_fp_ieee_inexact 0
		.amdhsa_exception_int_div_zero 0
	.end_amdhsa_kernel
	.section	.text._ZN9rocsparseL14nnz_kernel_colILi256ElifEEv16rocsparse_order_T1_S2_PKT2_lPT0_,"axG",@progbits,_ZN9rocsparseL14nnz_kernel_colILi256ElifEEv16rocsparse_order_T1_S2_PKT2_lPT0_,comdat
.Lfunc_end17:
	.size	_ZN9rocsparseL14nnz_kernel_colILi256ElifEEv16rocsparse_order_T1_S2_PKT2_lPT0_, .Lfunc_end17-_ZN9rocsparseL14nnz_kernel_colILi256ElifEEv16rocsparse_order_T1_S2_PKT2_lPT0_
                                        ; -- End function
	.set _ZN9rocsparseL14nnz_kernel_colILi256ElifEEv16rocsparse_order_T1_S2_PKT2_lPT0_.num_vgpr, 17
	.set _ZN9rocsparseL14nnz_kernel_colILi256ElifEEv16rocsparse_order_T1_S2_PKT2_lPT0_.num_agpr, 0
	.set _ZN9rocsparseL14nnz_kernel_colILi256ElifEEv16rocsparse_order_T1_S2_PKT2_lPT0_.numbered_sgpr, 14
	.set _ZN9rocsparseL14nnz_kernel_colILi256ElifEEv16rocsparse_order_T1_S2_PKT2_lPT0_.num_named_barrier, 0
	.set _ZN9rocsparseL14nnz_kernel_colILi256ElifEEv16rocsparse_order_T1_S2_PKT2_lPT0_.private_seg_size, 0
	.set _ZN9rocsparseL14nnz_kernel_colILi256ElifEEv16rocsparse_order_T1_S2_PKT2_lPT0_.uses_vcc, 1
	.set _ZN9rocsparseL14nnz_kernel_colILi256ElifEEv16rocsparse_order_T1_S2_PKT2_lPT0_.uses_flat_scratch, 0
	.set _ZN9rocsparseL14nnz_kernel_colILi256ElifEEv16rocsparse_order_T1_S2_PKT2_lPT0_.has_dyn_sized_stack, 0
	.set _ZN9rocsparseL14nnz_kernel_colILi256ElifEEv16rocsparse_order_T1_S2_PKT2_lPT0_.has_recursion, 0
	.set _ZN9rocsparseL14nnz_kernel_colILi256ElifEEv16rocsparse_order_T1_S2_PKT2_lPT0_.has_indirect_call, 0
	.section	.AMDGPU.csdata,"",@progbits
; Kernel info:
; codeLenInByte = 1828
; TotalNumSgprs: 16
; NumVgprs: 17
; ScratchSize: 0
; MemoryBound: 0
; FloatMode: 240
; IeeeMode: 1
; LDSByteSize: 2048 bytes/workgroup (compile time only)
; SGPRBlocks: 0
; VGPRBlocks: 2
; NumSGPRsForWavesPerEU: 16
; NumVGPRsForWavesPerEU: 17
; Occupancy: 16
; WaveLimiterHint : 0
; COMPUTE_PGM_RSRC2:SCRATCH_EN: 0
; COMPUTE_PGM_RSRC2:USER_SGPR: 6
; COMPUTE_PGM_RSRC2:TRAP_HANDLER: 0
; COMPUTE_PGM_RSRC2:TGID_X_EN: 1
; COMPUTE_PGM_RSRC2:TGID_Y_EN: 0
; COMPUTE_PGM_RSRC2:TGID_Z_EN: 0
; COMPUTE_PGM_RSRC2:TIDIG_COMP_CNT: 0
	.section	.text._ZN9rocsparseL14nnz_kernel_rowILi64ELi16ElidEEv16rocsparse_order_T2_S2_PKT3_lPT1_,"axG",@progbits,_ZN9rocsparseL14nnz_kernel_rowILi64ELi16ElidEEv16rocsparse_order_T2_S2_PKT3_lPT1_,comdat
	.globl	_ZN9rocsparseL14nnz_kernel_rowILi64ELi16ElidEEv16rocsparse_order_T2_S2_PKT3_lPT1_ ; -- Begin function _ZN9rocsparseL14nnz_kernel_rowILi64ELi16ElidEEv16rocsparse_order_T2_S2_PKT3_lPT1_
	.p2align	8
	.type	_ZN9rocsparseL14nnz_kernel_rowILi64ELi16ElidEEv16rocsparse_order_T2_S2_PKT3_lPT1_,@function
_ZN9rocsparseL14nnz_kernel_rowILi64ELi16ElidEEv16rocsparse_order_T2_S2_PKT3_lPT1_: ; @_ZN9rocsparseL14nnz_kernel_rowILi64ELi16ElidEEv16rocsparse_order_T2_S2_PKT3_lPT1_
; %bb.0:
	s_clause 0x2
	s_load_dword s0, s[4:5], 0x34
	s_load_dwordx8 s[8:15], s[4:5], 0x0
	s_load_dwordx2 s[16:17], s[4:5], 0x20
	s_lshl_b32 s5, s6, 8
	v_mov_b32_e32 v2, 0
	s_mov_b32 s19, 0
	s_mov_b32 s18, exec_lo
	v_mov_b32_e32 v3, v2
	v_mov_b32_e32 v4, v2
	;; [unrolled: 1-line block ×7, first 2 shown]
	s_waitcnt lgkmcnt(0)
	s_and_b32 s0, s0, 0xffff
	v_mad_u32_u24 v22, v1, s0, v0
	s_ashr_i32 s0, s10, 31
	s_lshr_b32 s0, s0, 26
	s_add_i32 s11, s10, s0
	v_and_b32_e32 v23, 63, v22
	v_lshrrev_b32_e32 v0, 4, v22
	s_andn2_b32 s11, s11, 63
	v_or_b32_e32 v18, s5, v23
	v_and_b32_e32 v0, 0x7ffffc, v0
	v_or_b32_e32 v26, 64, v18
	v_or_b32_e32 v25, 0x80, v18
	;; [unrolled: 1-line block ×3, first 2 shown]
	v_cmpx_gt_i32_e64 s11, v0
	s_cbranch_execz .LBB18_28
; %bb.1:
	v_lshrrev_b32_e32 v31, 6, v22
	v_add_nc_u32_e32 v3, s5, v23
	v_cmp_gt_i32_e64 s0, s9, v18
	v_cmp_gt_i32_e64 s1, s9, v26
	;; [unrolled: 1-line block ×3, first 2 shown]
	v_lshlrev_b32_e32 v27, 2, v31
	v_ashrrev_i32_e32 v4, 31, v3
	v_mul_lo_u32 v16, s15, v3
	v_mad_u64_u32 v[5:6], null, s14, v3, 0
	v_or_b32_e32 v13, 3, v27
	v_mul_lo_u32 v17, s14, v4
	v_or_b32_e32 v19, 2, v27
	v_add_nc_u32_e32 v15, 64, v3
	v_lshlrev_b64 v[9:10], 3, v[3:4]
	v_mad_u64_u32 v[7:8], null, s14, v13, 0
	v_mad_u64_u32 v[11:12], null, s14, v19, 0
	v_ashrrev_i32_e32 v4, 31, v15
	v_add3_u32 v6, v6, v17, v16
	v_mul_lo_u32 v20, s15, v15
	v_lshlrev_b32_e32 v35, 5, v31
	v_mov_b32_e32 v1, v8
	v_mul_lo_u32 v21, s14, v4
	v_lshlrev_b64 v[4:5], 3, v[5:6]
	v_add_nc_u32_e32 v28, 0x80, v3
	v_mad_u64_u32 v[16:17], null, s14, v27, s[14:15]
	v_mad_u64_u32 v[13:14], null, s15, v13, v[1:2]
	;; [unrolled: 1-line block ×3, first 2 shown]
	v_mov_b32_e32 v1, v12
	v_ashrrev_i32_e32 v29, 31, v28
	v_cmp_gt_i32_e64 s3, s9, v24
	s_cmp_lg_u32 s8, 1
	v_mov_b32_e32 v8, v13
	v_mad_u64_u32 v[12:13], null, s15, v19, v[1:2]
	v_add_co_u32 v1, vcc_lo, v4, v35
	v_lshlrev_b64 v[6:7], 3, v[7:8]
	v_add3_u32 v15, v15, v21, v20
	v_add_co_ci_u32_e64 v19, null, 0, v5, vcc_lo
	s_cselect_b32 s20, -1, 0
	s_lshl_b64 s[6:7], s[14:15], 9
	v_add_co_u32 v20, vcc_lo, v6, v9
	v_add_co_ci_u32_e64 v21, null, v7, v10, vcc_lo
	v_mad_u64_u32 v[7:8], null, s14, v28, 0
	v_mov_b32_e32 v6, v17
	v_lshlrev_b64 v[4:5], 3, v[14:15]
	v_mul_lo_u32 v15, s14, v29
	v_mul_lo_u32 v17, s15, v28
	v_mad_u64_u32 v[13:14], null, s15, v27, v[6:7]
	v_add_nc_u32_e32 v14, 0xc0, v3
	v_add_co_u32 v27, vcc_lo, v4, v35
	v_add_co_ci_u32_e64 v28, null, 0, v5, vcc_lo
	v_lshlrev_b64 v[5:6], 3, v[11:12]
	v_ashrrev_i32_e32 v29, 31, v14
	v_add3_u32 v8, v8, v15, v17
	v_mad_u64_u32 v[3:4], null, s14, v31, 0
	v_mul_lo_u32 v32, s15, v14
	v_mul_lo_u32 v15, s14, v29
	v_add_co_u32 v29, vcc_lo, v5, v9
	v_add_co_ci_u32_e64 v30, null, v6, v10, vcc_lo
	v_lshlrev_b64 v[5:6], 3, v[7:8]
	v_mad_u64_u32 v[11:12], null, s14, v14, 0
	v_mov_b32_e32 v17, v13
	v_mad_u64_u32 v[7:8], null, s15, v31, v[4:5]
	v_lshlrev_b64 v[13:14], 3, v[16:17]
	v_add3_u32 v12, v12, v15, v32
	v_add_co_u32 v31, vcc_lo, v5, v35
	v_add_co_ci_u32_e64 v32, null, 0, v6, vcc_lo
	v_mov_b32_e32 v4, v7
	v_lshlrev_b64 v[5:6], 3, v[11:12]
	v_add_co_u32 v33, vcc_lo, v13, v9
	v_add_co_ci_u32_e64 v34, null, v14, v10, vcc_lo
	v_lshlrev_b64 v[3:4], 5, v[3:4]
	v_add_co_u32 v35, vcc_lo, v5, v35
	v_add_co_ci_u32_e64 v36, null, 0, v6, vcc_lo
	v_mov_b32_e32 v5, v2
	v_add_co_u32 v37, vcc_lo, v3, v9
	v_add_co_ci_u32_e64 v38, null, v4, v10, vcc_lo
	v_mov_b32_e32 v3, v2
	v_mov_b32_e32 v4, v2
	;; [unrolled: 1-line block ×6, first 2 shown]
	s_branch .LBB18_4
.LBB18_2:                               ;   in Loop: Header=BB18_4 Depth=1
	v_mov_b32_e32 v2, v10
	v_mov_b32_e32 v3, v11
	;; [unrolled: 1-line block ×8, first 2 shown]
.LBB18_3:                               ;   in Loop: Header=BB18_4 Depth=1
	s_or_b32 exec_lo, exec_lo, s4
	v_add_co_u32 v1, vcc_lo, 0x200, v1
	v_add_co_ci_u32_e64 v19, null, 0, v19, vcc_lo
	v_add_co_u32 v20, vcc_lo, v20, s6
	v_add_co_ci_u32_e64 v21, null, s7, v21, vcc_lo
	;; [unrolled: 2-line block ×4, first 2 shown]
	v_add_co_u32 v31, vcc_lo, 0x200, v31
	v_add_nc_u32_e32 v0, 64, v0
	v_add_co_ci_u32_e64 v32, null, 0, v32, vcc_lo
	v_add_co_u32 v33, vcc_lo, v33, s6
	v_add_co_ci_u32_e64 v34, null, s7, v34, vcc_lo
	v_add_co_u32 v35, vcc_lo, 0x200, v35
	v_add_co_ci_u32_e64 v36, null, 0, v36, vcc_lo
	v_cmp_le_i32_e32 vcc_lo, s11, v0
	v_add_co_u32 v37, s4, v37, s6
	v_add_co_ci_u32_e64 v38, null, s7, v38, s4
	s_or_b32 s19, vcc_lo, s19
	s_andn2_b32 exec_lo, exec_lo, s19
	s_cbranch_execz .LBB18_27
.LBB18_4:                               ; =>This Inner Loop Header: Depth=1
	s_and_saveexec_b32 s4, s0
	s_cbranch_execnz .LBB18_8
; %bb.5:                                ;   in Loop: Header=BB18_4 Depth=1
	s_or_b32 exec_lo, exec_lo, s4
	s_and_saveexec_b32 s4, s1
	s_cbranch_execnz .LBB18_13
.LBB18_6:                               ;   in Loop: Header=BB18_4 Depth=1
	s_or_b32 exec_lo, exec_lo, s4
	s_and_saveexec_b32 s4, s2
	s_cbranch_execnz .LBB18_18
.LBB18_7:                               ;   in Loop: Header=BB18_4 Depth=1
	s_or_b32 exec_lo, exec_lo, s4
	s_and_saveexec_b32 s4, s3
	s_cbranch_execz .LBB18_3
	s_branch .LBB18_23
.LBB18_8:                               ;   in Loop: Header=BB18_4 Depth=1
	s_andn2_b32 vcc_lo, exec_lo, s20
	s_mov_b32 s21, -1
                                        ; implicit-def: $vgpr10_vgpr11_vgpr12_vgpr13_vgpr14_vgpr15_vgpr16_vgpr17
	s_cbranch_vccnz .LBB18_10
; %bb.9:                                ;   in Loop: Header=BB18_4 Depth=1
	v_add_co_u32 v14, vcc_lo, s12, v1
	v_add_co_ci_u32_e64 v15, null, s13, v19, vcc_lo
	v_add_co_u32 v39, vcc_lo, v2, 1
	v_add_co_ci_u32_e64 v40, null, 0, v3, vcc_lo
	s_clause 0x1
	global_load_dwordx4 v[10:13], v[14:15], off
	global_load_dwordx4 v[14:17], v[14:15], off offset:16
	s_mov_b32 s21, 0
	s_waitcnt vmcnt(1)
	v_cmp_neq_f64_e32 vcc_lo, 0, v[10:11]
	v_cndmask_b32_e32 v11, v2, v39, vcc_lo
	v_cndmask_b32_e32 v10, v3, v40, vcc_lo
	v_add_co_u32 v39, vcc_lo, v11, 1
	v_add_co_ci_u32_e64 v40, null, 0, v10, vcc_lo
	v_cmp_neq_f64_e32 vcc_lo, 0, v[12:13]
	v_cndmask_b32_e32 v11, v11, v39, vcc_lo
	v_cndmask_b32_e32 v10, v10, v40, vcc_lo
	v_add_co_u32 v12, vcc_lo, v11, 1
	v_add_co_ci_u32_e64 v13, null, 0, v10, vcc_lo
	s_waitcnt vmcnt(0)
	v_cmp_neq_f64_e32 vcc_lo, 0, v[14:15]
	v_mov_b32_e32 v14, v6
	v_mov_b32_e32 v15, v7
	v_cndmask_b32_e32 v39, v11, v12, vcc_lo
	v_cndmask_b32_e32 v10, v10, v13, vcc_lo
	v_mov_b32_e32 v12, v4
	v_mov_b32_e32 v13, v5
	v_add_co_u32 v40, vcc_lo, v39, 1
	v_add_co_ci_u32_e64 v11, null, 0, v10, vcc_lo
	v_cmp_neq_f64_e32 vcc_lo, 0, v[16:17]
	v_mov_b32_e32 v16, v8
	v_mov_b32_e32 v17, v9
	v_cndmask_b32_e32 v11, v10, v11, vcc_lo
	v_cndmask_b32_e32 v10, v39, v40, vcc_lo
.LBB18_10:                              ;   in Loop: Header=BB18_4 Depth=1
	s_andn2_b32 vcc_lo, exec_lo, s21
	s_cbranch_vccnz .LBB18_12
; %bb.11:                               ;   in Loop: Header=BB18_4 Depth=1
	v_add_co_u32 v10, vcc_lo, s12, v37
	v_add_co_ci_u32_e64 v11, null, s13, v38, vcc_lo
	v_add_co_u32 v12, vcc_lo, s12, v33
	v_add_co_ci_u32_e64 v13, null, s13, v34, vcc_lo
	global_load_dwordx2 v[10:11], v[10:11], off
	v_add_co_u32 v14, vcc_lo, s12, v29
	global_load_dwordx2 v[12:13], v[12:13], off
	v_add_co_ci_u32_e64 v15, null, s13, v30, vcc_lo
	v_add_co_u32 v16, vcc_lo, s12, v20
	v_add_co_ci_u32_e64 v17, null, s13, v21, vcc_lo
	global_load_dwordx2 v[14:15], v[14:15], off
	v_add_co_u32 v39, vcc_lo, v2, 1
	global_load_dwordx2 v[16:17], v[16:17], off
	v_add_co_ci_u32_e64 v40, null, 0, v3, vcc_lo
	s_waitcnt vmcnt(3)
	v_cmp_neq_f64_e32 vcc_lo, 0, v[10:11]
	v_cndmask_b32_e32 v2, v2, v39, vcc_lo
	v_cndmask_b32_e32 v3, v3, v40, vcc_lo
	v_add_co_u32 v10, vcc_lo, v2, 1
	v_add_co_ci_u32_e64 v11, null, 0, v3, vcc_lo
	s_waitcnt vmcnt(2)
	v_cmp_neq_f64_e32 vcc_lo, 0, v[12:13]
	v_cndmask_b32_e32 v2, v2, v10, vcc_lo
	v_cndmask_b32_e32 v3, v3, v11, vcc_lo
	v_add_co_u32 v10, vcc_lo, v2, 1
	;; [unrolled: 6-line block ×3, first 2 shown]
	v_add_co_ci_u32_e64 v11, null, 0, v3, vcc_lo
	s_waitcnt vmcnt(0)
	v_cmp_neq_f64_e32 vcc_lo, 0, v[16:17]
	v_cndmask_b32_e32 v3, v3, v11, vcc_lo
	v_cndmask_b32_e32 v2, v2, v10, vcc_lo
	v_mov_b32_e32 v17, v9
	v_mov_b32_e32 v16, v8
	;; [unrolled: 1-line block ×8, first 2 shown]
.LBB18_12:                              ;   in Loop: Header=BB18_4 Depth=1
	v_mov_b32_e32 v2, v10
	v_mov_b32_e32 v3, v11
	;; [unrolled: 1-line block ×8, first 2 shown]
	s_or_b32 exec_lo, exec_lo, s4
	s_and_saveexec_b32 s4, s1
	s_cbranch_execz .LBB18_6
.LBB18_13:                              ;   in Loop: Header=BB18_4 Depth=1
	s_andn2_b32 vcc_lo, exec_lo, s20
	s_mov_b32 s21, -1
                                        ; implicit-def: $vgpr10_vgpr11_vgpr12_vgpr13_vgpr14_vgpr15_vgpr16_vgpr17
	s_cbranch_vccnz .LBB18_15
; %bb.14:                               ;   in Loop: Header=BB18_4 Depth=1
	v_add_co_u32 v14, vcc_lo, s12, v27
	v_add_co_ci_u32_e64 v15, null, s13, v28, vcc_lo
	v_add_co_u32 v39, vcc_lo, v4, 1
	v_add_co_ci_u32_e64 v40, null, 0, v5, vcc_lo
	s_clause 0x1
	global_load_dwordx4 v[10:13], v[14:15], off
	global_load_dwordx4 v[14:17], v[14:15], off offset:16
	s_mov_b32 s21, 0
	s_waitcnt vmcnt(1)
	v_cmp_neq_f64_e32 vcc_lo, 0, v[10:11]
	v_cndmask_b32_e32 v11, v4, v39, vcc_lo
	v_cndmask_b32_e32 v10, v5, v40, vcc_lo
	v_add_co_u32 v39, vcc_lo, v11, 1
	v_add_co_ci_u32_e64 v40, null, 0, v10, vcc_lo
	v_cmp_neq_f64_e32 vcc_lo, 0, v[12:13]
	v_cndmask_b32_e32 v11, v11, v39, vcc_lo
	v_cndmask_b32_e32 v10, v10, v40, vcc_lo
	v_add_co_u32 v12, vcc_lo, v11, 1
	v_add_co_ci_u32_e64 v13, null, 0, v10, vcc_lo
	s_waitcnt vmcnt(0)
	v_cmp_neq_f64_e32 vcc_lo, 0, v[14:15]
	v_mov_b32_e32 v14, v6
	v_mov_b32_e32 v15, v7
	v_cndmask_b32_e32 v12, v11, v12, vcc_lo
	v_cndmask_b32_e32 v13, v10, v13, vcc_lo
	v_mov_b32_e32 v10, v2
	v_mov_b32_e32 v11, v3
	v_add_co_u32 v39, vcc_lo, v12, 1
	v_add_co_ci_u32_e64 v40, null, 0, v13, vcc_lo
	v_cmp_neq_f64_e32 vcc_lo, 0, v[16:17]
	v_mov_b32_e32 v16, v8
	v_mov_b32_e32 v17, v9
	v_cndmask_b32_e32 v13, v13, v40, vcc_lo
	v_cndmask_b32_e32 v12, v12, v39, vcc_lo
.LBB18_15:                              ;   in Loop: Header=BB18_4 Depth=1
	s_andn2_b32 vcc_lo, exec_lo, s21
	s_cbranch_vccnz .LBB18_17
; %bb.16:                               ;   in Loop: Header=BB18_4 Depth=1
	v_add_co_u32 v10, vcc_lo, s12, v37
	v_add_co_ci_u32_e64 v11, null, s13, v38, vcc_lo
	v_add_co_u32 v12, vcc_lo, s12, v33
	v_add_co_ci_u32_e64 v13, null, s13, v34, vcc_lo
	global_load_dwordx2 v[10:11], v[10:11], off offset:512
	v_add_co_u32 v14, vcc_lo, s12, v29
	global_load_dwordx2 v[12:13], v[12:13], off offset:512
	v_add_co_ci_u32_e64 v15, null, s13, v30, vcc_lo
	v_add_co_u32 v16, vcc_lo, s12, v20
	v_add_co_ci_u32_e64 v17, null, s13, v21, vcc_lo
	global_load_dwordx2 v[14:15], v[14:15], off offset:512
	v_add_co_u32 v39, vcc_lo, v4, 1
	global_load_dwordx2 v[16:17], v[16:17], off offset:512
	v_add_co_ci_u32_e64 v40, null, 0, v5, vcc_lo
	s_waitcnt vmcnt(3)
	v_cmp_neq_f64_e32 vcc_lo, 0, v[10:11]
	v_cndmask_b32_e32 v4, v4, v39, vcc_lo
	v_cndmask_b32_e32 v5, v5, v40, vcc_lo
	v_add_co_u32 v10, vcc_lo, v4, 1
	v_add_co_ci_u32_e64 v11, null, 0, v5, vcc_lo
	s_waitcnt vmcnt(2)
	v_cmp_neq_f64_e32 vcc_lo, 0, v[12:13]
	v_cndmask_b32_e32 v4, v4, v10, vcc_lo
	v_cndmask_b32_e32 v5, v5, v11, vcc_lo
	v_add_co_u32 v10, vcc_lo, v4, 1
	;; [unrolled: 6-line block ×3, first 2 shown]
	v_add_co_ci_u32_e64 v11, null, 0, v5, vcc_lo
	s_waitcnt vmcnt(0)
	v_cmp_neq_f64_e32 vcc_lo, 0, v[16:17]
	v_cndmask_b32_e32 v5, v5, v11, vcc_lo
	v_cndmask_b32_e32 v4, v4, v10, vcc_lo
	v_mov_b32_e32 v17, v9
	v_mov_b32_e32 v16, v8
	;; [unrolled: 1-line block ×8, first 2 shown]
.LBB18_17:                              ;   in Loop: Header=BB18_4 Depth=1
	v_mov_b32_e32 v2, v10
	v_mov_b32_e32 v3, v11
	;; [unrolled: 1-line block ×8, first 2 shown]
	s_or_b32 exec_lo, exec_lo, s4
	s_and_saveexec_b32 s4, s2
	s_cbranch_execz .LBB18_7
.LBB18_18:                              ;   in Loop: Header=BB18_4 Depth=1
	s_andn2_b32 vcc_lo, exec_lo, s20
	s_mov_b32 s21, -1
                                        ; implicit-def: $vgpr10_vgpr11_vgpr12_vgpr13_vgpr14_vgpr15_vgpr16_vgpr17
	s_cbranch_vccnz .LBB18_20
; %bb.19:                               ;   in Loop: Header=BB18_4 Depth=1
	v_add_co_u32 v14, vcc_lo, s12, v31
	v_add_co_ci_u32_e64 v15, null, s13, v32, vcc_lo
	v_add_co_u32 v39, vcc_lo, v6, 1
	v_add_co_ci_u32_e64 v40, null, 0, v7, vcc_lo
	s_clause 0x1
	global_load_dwordx4 v[10:13], v[14:15], off
	global_load_dwordx4 v[14:17], v[14:15], off offset:16
	s_mov_b32 s21, 0
	s_waitcnt vmcnt(1)
	v_cmp_neq_f64_e32 vcc_lo, 0, v[10:11]
	v_cndmask_b32_e32 v11, v6, v39, vcc_lo
	v_cndmask_b32_e32 v10, v7, v40, vcc_lo
	v_add_co_u32 v39, vcc_lo, v11, 1
	v_add_co_ci_u32_e64 v40, null, 0, v10, vcc_lo
	v_cmp_neq_f64_e32 vcc_lo, 0, v[12:13]
	v_cndmask_b32_e32 v11, v11, v39, vcc_lo
	v_cndmask_b32_e32 v10, v10, v40, vcc_lo
	v_add_co_u32 v12, vcc_lo, v11, 1
	v_add_co_ci_u32_e64 v13, null, 0, v10, vcc_lo
	s_waitcnt vmcnt(0)
	v_cmp_neq_f64_e32 vcc_lo, 0, v[14:15]
	v_cndmask_b32_e32 v39, v11, v12, vcc_lo
	v_cndmask_b32_e32 v14, v10, v13, vcc_lo
	v_mov_b32_e32 v10, v2
	v_mov_b32_e32 v11, v3
	;; [unrolled: 1-line block ×3, first 2 shown]
	v_add_co_u32 v40, vcc_lo, v39, 1
	v_add_co_ci_u32_e64 v15, null, 0, v14, vcc_lo
	v_cmp_neq_f64_e32 vcc_lo, 0, v[16:17]
	v_mov_b32_e32 v13, v5
	v_mov_b32_e32 v16, v8
	;; [unrolled: 1-line block ×3, first 2 shown]
	v_cndmask_b32_e32 v15, v14, v15, vcc_lo
	v_cndmask_b32_e32 v14, v39, v40, vcc_lo
.LBB18_20:                              ;   in Loop: Header=BB18_4 Depth=1
	s_andn2_b32 vcc_lo, exec_lo, s21
	s_cbranch_vccnz .LBB18_22
; %bb.21:                               ;   in Loop: Header=BB18_4 Depth=1
	v_add_co_u32 v10, vcc_lo, s12, v37
	v_add_co_ci_u32_e64 v11, null, s13, v38, vcc_lo
	v_add_co_u32 v12, vcc_lo, s12, v33
	v_add_co_ci_u32_e64 v13, null, s13, v34, vcc_lo
	global_load_dwordx2 v[10:11], v[10:11], off offset:1024
	v_add_co_u32 v14, vcc_lo, s12, v29
	global_load_dwordx2 v[12:13], v[12:13], off offset:1024
	v_add_co_ci_u32_e64 v15, null, s13, v30, vcc_lo
	v_add_co_u32 v16, vcc_lo, s12, v20
	v_add_co_ci_u32_e64 v17, null, s13, v21, vcc_lo
	global_load_dwordx2 v[14:15], v[14:15], off offset:1024
	v_add_co_u32 v39, vcc_lo, v6, 1
	global_load_dwordx2 v[16:17], v[16:17], off offset:1024
	v_add_co_ci_u32_e64 v40, null, 0, v7, vcc_lo
	s_waitcnt vmcnt(3)
	v_cmp_neq_f64_e32 vcc_lo, 0, v[10:11]
	v_cndmask_b32_e32 v6, v6, v39, vcc_lo
	v_cndmask_b32_e32 v7, v7, v40, vcc_lo
	v_add_co_u32 v10, vcc_lo, v6, 1
	v_add_co_ci_u32_e64 v11, null, 0, v7, vcc_lo
	s_waitcnt vmcnt(2)
	v_cmp_neq_f64_e32 vcc_lo, 0, v[12:13]
	v_cndmask_b32_e32 v6, v6, v10, vcc_lo
	v_cndmask_b32_e32 v7, v7, v11, vcc_lo
	v_add_co_u32 v10, vcc_lo, v6, 1
	;; [unrolled: 6-line block ×3, first 2 shown]
	v_add_co_ci_u32_e64 v11, null, 0, v7, vcc_lo
	s_waitcnt vmcnt(0)
	v_cmp_neq_f64_e32 vcc_lo, 0, v[16:17]
	v_cndmask_b32_e32 v7, v7, v11, vcc_lo
	v_cndmask_b32_e32 v6, v6, v10, vcc_lo
	v_mov_b32_e32 v17, v9
	v_mov_b32_e32 v16, v8
	;; [unrolled: 1-line block ×8, first 2 shown]
.LBB18_22:                              ;   in Loop: Header=BB18_4 Depth=1
	v_mov_b32_e32 v2, v10
	v_mov_b32_e32 v3, v11
	;; [unrolled: 1-line block ×8, first 2 shown]
	s_or_b32 exec_lo, exec_lo, s4
	s_and_saveexec_b32 s4, s3
	s_cbranch_execz .LBB18_3
.LBB18_23:                              ;   in Loop: Header=BB18_4 Depth=1
	s_andn2_b32 vcc_lo, exec_lo, s20
	s_mov_b32 s21, -1
                                        ; implicit-def: $vgpr10_vgpr11_vgpr12_vgpr13_vgpr14_vgpr15_vgpr16_vgpr17
	s_cbranch_vccnz .LBB18_25
; %bb.24:                               ;   in Loop: Header=BB18_4 Depth=1
	v_add_co_u32 v14, vcc_lo, s12, v35
	v_add_co_ci_u32_e64 v15, null, s13, v36, vcc_lo
	v_add_co_u32 v39, vcc_lo, v8, 1
	v_add_co_ci_u32_e64 v40, null, 0, v9, vcc_lo
	s_clause 0x1
	global_load_dwordx4 v[10:13], v[14:15], off
	global_load_dwordx4 v[14:17], v[14:15], off offset:16
	s_mov_b32 s21, 0
	s_waitcnt vmcnt(1)
	v_cmp_neq_f64_e32 vcc_lo, 0, v[10:11]
	v_cndmask_b32_e32 v11, v8, v39, vcc_lo
	v_cndmask_b32_e32 v10, v9, v40, vcc_lo
	v_add_co_u32 v39, vcc_lo, v11, 1
	v_add_co_ci_u32_e64 v40, null, 0, v10, vcc_lo
	v_cmp_neq_f64_e32 vcc_lo, 0, v[12:13]
	v_cndmask_b32_e32 v11, v11, v39, vcc_lo
	v_cndmask_b32_e32 v10, v10, v40, vcc_lo
	v_add_co_u32 v12, vcc_lo, v11, 1
	v_add_co_ci_u32_e64 v13, null, 0, v10, vcc_lo
	s_waitcnt vmcnt(0)
	v_cmp_neq_f64_e32 vcc_lo, 0, v[14:15]
	v_mov_b32_e32 v14, v6
	v_cndmask_b32_e32 v39, v11, v12, vcc_lo
	v_cndmask_b32_e32 v15, v10, v13, vcc_lo
	v_mov_b32_e32 v10, v2
	v_mov_b32_e32 v11, v3
	;; [unrolled: 1-line block ×3, first 2 shown]
	v_add_co_u32 v40, vcc_lo, v39, 1
	v_add_co_ci_u32_e64 v41, null, 0, v15, vcc_lo
	v_cmp_neq_f64_e32 vcc_lo, 0, v[16:17]
	v_mov_b32_e32 v13, v5
	v_cndmask_b32_e32 v17, v15, v41, vcc_lo
	v_cndmask_b32_e32 v16, v39, v40, vcc_lo
	v_mov_b32_e32 v15, v7
.LBB18_25:                              ;   in Loop: Header=BB18_4 Depth=1
	s_andn2_b32 vcc_lo, exec_lo, s21
	s_cbranch_vccnz .LBB18_2
; %bb.26:                               ;   in Loop: Header=BB18_4 Depth=1
	v_add_co_u32 v10, vcc_lo, s12, v37
	v_add_co_ci_u32_e64 v11, null, s13, v38, vcc_lo
	v_add_co_u32 v12, vcc_lo, s12, v33
	v_add_co_ci_u32_e64 v13, null, s13, v34, vcc_lo
	global_load_dwordx2 v[10:11], v[10:11], off offset:1536
	v_add_co_u32 v14, vcc_lo, s12, v29
	global_load_dwordx2 v[12:13], v[12:13], off offset:1536
	v_add_co_ci_u32_e64 v15, null, s13, v30, vcc_lo
	v_add_co_u32 v16, vcc_lo, s12, v20
	v_add_co_ci_u32_e64 v17, null, s13, v21, vcc_lo
	global_load_dwordx2 v[14:15], v[14:15], off offset:1536
	v_add_co_u32 v39, vcc_lo, v8, 1
	global_load_dwordx2 v[16:17], v[16:17], off offset:1536
	v_add_co_ci_u32_e64 v40, null, 0, v9, vcc_lo
	s_waitcnt vmcnt(3)
	v_cmp_neq_f64_e32 vcc_lo, 0, v[10:11]
	v_cndmask_b32_e32 v8, v8, v39, vcc_lo
	v_cndmask_b32_e32 v9, v9, v40, vcc_lo
	v_add_co_u32 v10, vcc_lo, v8, 1
	v_add_co_ci_u32_e64 v11, null, 0, v9, vcc_lo
	s_waitcnt vmcnt(2)
	v_cmp_neq_f64_e32 vcc_lo, 0, v[12:13]
	v_cndmask_b32_e32 v8, v8, v10, vcc_lo
	v_cndmask_b32_e32 v9, v9, v11, vcc_lo
	v_add_co_u32 v10, vcc_lo, v8, 1
	v_add_co_ci_u32_e64 v11, null, 0, v9, vcc_lo
	s_waitcnt vmcnt(1)
	v_cmp_neq_f64_e32 vcc_lo, 0, v[14:15]
	v_cndmask_b32_e32 v8, v8, v10, vcc_lo
	v_cndmask_b32_e32 v9, v9, v11, vcc_lo
	v_add_co_u32 v10, vcc_lo, v8, 1
	v_add_co_ci_u32_e64 v11, null, 0, v9, vcc_lo
	s_waitcnt vmcnt(0)
	v_cmp_neq_f64_e32 vcc_lo, 0, v[16:17]
	v_cndmask_b32_e32 v9, v9, v11, vcc_lo
	v_cndmask_b32_e32 v8, v8, v10, vcc_lo
	v_mov_b32_e32 v17, v9
	v_mov_b32_e32 v16, v8
	;; [unrolled: 1-line block ×8, first 2 shown]
	s_branch .LBB18_2
.LBB18_27:
	s_or_b32 exec_lo, exec_lo, s19
.LBB18_28:
	s_or_b32 exec_lo, exec_lo, s18
	s_sub_i32 s0, s10, s11
	s_cmp_lt_i32 s0, 1
	s_cbranch_scc1 .LBB18_134
; %bb.29:
	v_mov_b32_e32 v1, 0
	v_ashrrev_i32_e32 v19, 31, v18
	s_cmp_lg_u32 s8, 1
	s_cselect_b32 s1, -1, 0
	v_lshlrev_b64 v[10:11], 3, v[0:1]
	v_add_co_u32 v1, s0, s12, v10
	v_add_co_ci_u32_e64 v27, null, s13, v11, s0
	s_mov_b32 s0, exec_lo
	v_cmpx_gt_i32_e64 s9, v18
	s_cbranch_execnz .LBB18_33
; %bb.30:
	s_or_b32 exec_lo, exec_lo, s0
	s_mov_b32 s0, exec_lo
	v_cmpx_gt_i32_e64 s9, v26
	s_cbranch_execnz .LBB18_58
.LBB18_31:
	s_or_b32 exec_lo, exec_lo, s0
	s_mov_b32 s0, exec_lo
	v_cmpx_gt_i32_e64 s9, v25
	s_cbranch_execnz .LBB18_83
.LBB18_32:
	s_or_b32 exec_lo, exec_lo, s0
	s_mov_b32 s2, exec_lo
	v_cmpx_gt_i32_e64 s9, v24
	s_cbranch_execnz .LBB18_108
	s_branch .LBB18_133
.LBB18_33:
	v_mul_lo_u32 v12, s15, v18
	v_mul_lo_u32 v13, s14, v19
	v_mad_u64_u32 v[10:11], null, s14, v18, 0
	s_mov_b32 s2, exec_lo
	v_add3_u32 v11, v11, v13, v12
	v_lshlrev_b64 v[12:13], 3, v[18:19]
	v_lshlrev_b64 v[10:11], 3, v[10:11]
	v_add_co_u32 v28, vcc_lo, s12, v12
	v_add_co_ci_u32_e64 v29, null, s13, v13, vcc_lo
	v_add_co_u32 v20, vcc_lo, v1, v10
	v_add_co_ci_u32_e64 v21, null, v27, v11, vcc_lo
	v_cmpx_gt_i32_e64 s10, v0
	s_cbranch_execz .LBB18_39
; %bb.34:
	s_and_b32 vcc_lo, exec_lo, s1
	s_cbranch_vccz .LBB18_36
; %bb.35:
	global_load_dwordx2 v[10:11], v[20:21], off
	s_waitcnt vmcnt(0)
	v_cmp_neq_f64_e32 vcc_lo, 0, v[10:11]
	v_cndmask_b32_e64 v10, 0, 1, vcc_lo
	v_add_co_u32 v30, vcc_lo, v2, v10
	v_add_co_ci_u32_e64 v31, null, 0, v3, vcc_lo
	v_mov_b32_e32 v17, v9
	v_mov_b32_e32 v11, v3
	;; [unrolled: 1-line block ×10, first 2 shown]
	s_cbranch_execz .LBB18_37
	s_branch .LBB18_38
.LBB18_36:
                                        ; implicit-def: $vgpr10_vgpr11_vgpr12_vgpr13_vgpr14_vgpr15_vgpr16_vgpr17
.LBB18_37:
	v_mad_u64_u32 v[10:11], null, s14, v0, 0
	v_mad_u64_u32 v[11:12], null, s15, v0, v[11:12]
	v_lshlrev_b64 v[10:11], 3, v[10:11]
	v_add_co_u32 v10, vcc_lo, v28, v10
	v_add_co_ci_u32_e64 v11, null, v29, v11, vcc_lo
	global_load_dwordx2 v[10:11], v[10:11], off
	s_waitcnt vmcnt(0)
	v_cmp_neq_f64_e32 vcc_lo, 0, v[10:11]
	v_cndmask_b32_e64 v10, 0, 1, vcc_lo
	v_add_co_u32 v2, vcc_lo, v2, v10
	v_add_co_ci_u32_e64 v3, null, 0, v3, vcc_lo
	v_mov_b32_e32 v17, v9
	v_mov_b32_e32 v16, v8
	;; [unrolled: 1-line block ×8, first 2 shown]
.LBB18_38:
	v_mov_b32_e32 v2, v10
	v_mov_b32_e32 v3, v11
	;; [unrolled: 1-line block ×8, first 2 shown]
.LBB18_39:
	s_or_b32 exec_lo, exec_lo, s2
	v_or_b32_e32 v30, 1, v0
	s_mov_b32 s2, exec_lo
	v_cmpx_gt_i32_e64 s10, v30
	s_cbranch_execz .LBB18_45
; %bb.40:
	s_andn2_b32 vcc_lo, exec_lo, s1
	s_cbranch_vccnz .LBB18_42
; %bb.41:
	global_load_dwordx2 v[10:11], v[20:21], off offset:8
	s_waitcnt vmcnt(0)
	v_cmp_neq_f64_e32 vcc_lo, 0, v[10:11]
	v_cndmask_b32_e64 v10, 0, 1, vcc_lo
	v_add_co_u32 v31, vcc_lo, v2, v10
	v_add_co_ci_u32_e64 v32, null, 0, v3, vcc_lo
	v_mov_b32_e32 v17, v9
	v_mov_b32_e32 v11, v3
	v_mov_b32_e32 v10, v2
	v_mov_b32_e32 v16, v8
	v_mov_b32_e32 v15, v7
	v_mov_b32_e32 v14, v6
	v_mov_b32_e32 v13, v5
	v_mov_b32_e32 v12, v4
	v_mov_b32_e32 v10, v31
	v_mov_b32_e32 v11, v32
	s_cbranch_execz .LBB18_43
	s_branch .LBB18_44
.LBB18_42:
                                        ; implicit-def: $vgpr10_vgpr11_vgpr12_vgpr13_vgpr14_vgpr15_vgpr16_vgpr17
.LBB18_43:
	v_mad_u64_u32 v[10:11], null, s14, v30, 0
	v_mad_u64_u32 v[11:12], null, s15, v30, v[11:12]
	v_lshlrev_b64 v[10:11], 3, v[10:11]
	v_add_co_u32 v10, vcc_lo, v28, v10
	v_add_co_ci_u32_e64 v11, null, v29, v11, vcc_lo
	global_load_dwordx2 v[10:11], v[10:11], off
	s_waitcnt vmcnt(0)
	v_cmp_neq_f64_e32 vcc_lo, 0, v[10:11]
	v_cndmask_b32_e64 v10, 0, 1, vcc_lo
	v_add_co_u32 v2, vcc_lo, v2, v10
	v_add_co_ci_u32_e64 v3, null, 0, v3, vcc_lo
	v_mov_b32_e32 v17, v9
	v_mov_b32_e32 v16, v8
	v_mov_b32_e32 v15, v7
	v_mov_b32_e32 v14, v6
	v_mov_b32_e32 v13, v5
	v_mov_b32_e32 v12, v4
	v_mov_b32_e32 v11, v3
	v_mov_b32_e32 v10, v2
.LBB18_44:
	v_mov_b32_e32 v2, v10
	v_mov_b32_e32 v3, v11
	v_mov_b32_e32 v4, v12
	v_mov_b32_e32 v5, v13
	v_mov_b32_e32 v6, v14
	v_mov_b32_e32 v7, v15
	v_mov_b32_e32 v8, v16
	v_mov_b32_e32 v9, v17
.LBB18_45:
	s_or_b32 exec_lo, exec_lo, s2
	v_or_b32_e32 v30, 2, v0
	s_mov_b32 s2, exec_lo
	v_cmpx_gt_i32_e64 s10, v30
	s_cbranch_execz .LBB18_51
; %bb.46:
	s_andn2_b32 vcc_lo, exec_lo, s1
	s_cbranch_vccnz .LBB18_48
; %bb.47:
	global_load_dwordx2 v[10:11], v[20:21], off offset:16
	s_waitcnt vmcnt(0)
	v_cmp_neq_f64_e32 vcc_lo, 0, v[10:11]
	v_cndmask_b32_e64 v10, 0, 1, vcc_lo
	v_add_co_u32 v31, vcc_lo, v2, v10
	v_add_co_ci_u32_e64 v32, null, 0, v3, vcc_lo
	v_mov_b32_e32 v17, v9
	v_mov_b32_e32 v11, v3
	v_mov_b32_e32 v10, v2
	v_mov_b32_e32 v16, v8
	v_mov_b32_e32 v15, v7
	v_mov_b32_e32 v14, v6
	v_mov_b32_e32 v13, v5
	v_mov_b32_e32 v12, v4
	v_mov_b32_e32 v10, v31
	v_mov_b32_e32 v11, v32
	s_cbranch_execz .LBB18_49
	s_branch .LBB18_50
.LBB18_48:
                                        ; implicit-def: $vgpr10_vgpr11_vgpr12_vgpr13_vgpr14_vgpr15_vgpr16_vgpr17
.LBB18_49:
	v_mad_u64_u32 v[10:11], null, s14, v30, 0
	v_mad_u64_u32 v[11:12], null, s15, v30, v[11:12]
	v_lshlrev_b64 v[10:11], 3, v[10:11]
	v_add_co_u32 v10, vcc_lo, v28, v10
	v_add_co_ci_u32_e64 v11, null, v29, v11, vcc_lo
	global_load_dwordx2 v[10:11], v[10:11], off
	s_waitcnt vmcnt(0)
	v_cmp_neq_f64_e32 vcc_lo, 0, v[10:11]
	v_cndmask_b32_e64 v10, 0, 1, vcc_lo
	v_add_co_u32 v2, vcc_lo, v2, v10
	v_add_co_ci_u32_e64 v3, null, 0, v3, vcc_lo
	v_mov_b32_e32 v17, v9
	v_mov_b32_e32 v16, v8
	v_mov_b32_e32 v15, v7
	v_mov_b32_e32 v14, v6
	v_mov_b32_e32 v13, v5
	v_mov_b32_e32 v12, v4
	v_mov_b32_e32 v11, v3
	v_mov_b32_e32 v10, v2
.LBB18_50:
	v_mov_b32_e32 v2, v10
	v_mov_b32_e32 v3, v11
	v_mov_b32_e32 v4, v12
	v_mov_b32_e32 v5, v13
	v_mov_b32_e32 v6, v14
	v_mov_b32_e32 v7, v15
	v_mov_b32_e32 v8, v16
	v_mov_b32_e32 v9, v17
.LBB18_51:
	;; [unrolled: 59-line block ×3, first 2 shown]
	s_or_b32 exec_lo, exec_lo, s2
	s_or_b32 exec_lo, exec_lo, s0
	s_mov_b32 s0, exec_lo
	v_cmpx_gt_i32_e64 s9, v26
	s_cbranch_execz .LBB18_31
.LBB18_58:
	v_ashrrev_i32_e32 v12, 31, v26
	v_mul_lo_u32 v13, s15, v26
	v_mad_u64_u32 v[10:11], null, s14, v26, 0
	s_mov_b32 s2, exec_lo
	v_mul_lo_u32 v12, s14, v12
	v_add3_u32 v11, v11, v12, v13
	v_lshlrev_b64 v[12:13], 3, v[18:19]
	v_lshlrev_b64 v[10:11], 3, v[10:11]
	v_add_co_u32 v26, vcc_lo, s12, v12
	v_add_co_ci_u32_e64 v28, null, s13, v13, vcc_lo
	v_add_co_u32 v20, vcc_lo, v1, v10
	v_add_co_ci_u32_e64 v21, null, v27, v11, vcc_lo
	v_cmpx_gt_i32_e64 s10, v0
	s_cbranch_execz .LBB18_64
; %bb.59:
	s_andn2_b32 vcc_lo, exec_lo, s1
	s_cbranch_vccnz .LBB18_61
; %bb.60:
	global_load_dwordx2 v[10:11], v[20:21], off
	s_waitcnt vmcnt(0)
	v_cmp_neq_f64_e32 vcc_lo, 0, v[10:11]
	v_cndmask_b32_e64 v10, 0, 1, vcc_lo
	v_add_co_u32 v29, vcc_lo, v4, v10
	v_add_co_ci_u32_e64 v30, null, 0, v5, vcc_lo
	v_mov_b32_e32 v17, v9
	v_mov_b32_e32 v13, v5
	;; [unrolled: 1-line block ×10, first 2 shown]
	s_cbranch_execz .LBB18_62
	s_branch .LBB18_63
.LBB18_61:
                                        ; implicit-def: $vgpr10_vgpr11_vgpr12_vgpr13_vgpr14_vgpr15_vgpr16_vgpr17
.LBB18_62:
	v_mad_u64_u32 v[10:11], null, s14, v0, 0
	v_mad_u64_u32 v[11:12], null, s15, v0, v[11:12]
	v_lshlrev_b64 v[10:11], 3, v[10:11]
	v_add_co_u32 v10, vcc_lo, v26, v10
	v_add_co_ci_u32_e64 v11, null, v28, v11, vcc_lo
	global_load_dwordx2 v[10:11], v[10:11], off offset:512
	s_waitcnt vmcnt(0)
	v_cmp_neq_f64_e32 vcc_lo, 0, v[10:11]
	v_cndmask_b32_e64 v10, 0, 1, vcc_lo
	v_add_co_u32 v4, vcc_lo, v4, v10
	v_add_co_ci_u32_e64 v5, null, 0, v5, vcc_lo
	v_mov_b32_e32 v17, v9
	v_mov_b32_e32 v16, v8
	;; [unrolled: 1-line block ×8, first 2 shown]
.LBB18_63:
	v_mov_b32_e32 v2, v10
	v_mov_b32_e32 v3, v11
	v_mov_b32_e32 v4, v12
	v_mov_b32_e32 v5, v13
	v_mov_b32_e32 v6, v14
	v_mov_b32_e32 v7, v15
	v_mov_b32_e32 v8, v16
	v_mov_b32_e32 v9, v17
.LBB18_64:
	s_or_b32 exec_lo, exec_lo, s2
	v_or_b32_e32 v29, 1, v0
	s_mov_b32 s2, exec_lo
	v_cmpx_gt_i32_e64 s10, v29
	s_cbranch_execz .LBB18_70
; %bb.65:
	s_andn2_b32 vcc_lo, exec_lo, s1
	s_cbranch_vccnz .LBB18_67
; %bb.66:
	global_load_dwordx2 v[10:11], v[20:21], off offset:8
	s_waitcnt vmcnt(0)
	v_cmp_neq_f64_e32 vcc_lo, 0, v[10:11]
	v_cndmask_b32_e64 v10, 0, 1, vcc_lo
	v_add_co_u32 v30, vcc_lo, v4, v10
	v_add_co_ci_u32_e64 v31, null, 0, v5, vcc_lo
	v_mov_b32_e32 v17, v9
	v_mov_b32_e32 v13, v5
	v_mov_b32_e32 v12, v4
	v_mov_b32_e32 v16, v8
	v_mov_b32_e32 v15, v7
	v_mov_b32_e32 v14, v6
	v_mov_b32_e32 v11, v3
	v_mov_b32_e32 v10, v2
	v_mov_b32_e32 v12, v30
	v_mov_b32_e32 v13, v31
	s_cbranch_execz .LBB18_68
	s_branch .LBB18_69
.LBB18_67:
                                        ; implicit-def: $vgpr10_vgpr11_vgpr12_vgpr13_vgpr14_vgpr15_vgpr16_vgpr17
.LBB18_68:
	v_mad_u64_u32 v[10:11], null, s14, v29, 0
	v_mad_u64_u32 v[11:12], null, s15, v29, v[11:12]
	v_lshlrev_b64 v[10:11], 3, v[10:11]
	v_add_co_u32 v10, vcc_lo, v26, v10
	v_add_co_ci_u32_e64 v11, null, v28, v11, vcc_lo
	global_load_dwordx2 v[10:11], v[10:11], off offset:512
	s_waitcnt vmcnt(0)
	v_cmp_neq_f64_e32 vcc_lo, 0, v[10:11]
	v_cndmask_b32_e64 v10, 0, 1, vcc_lo
	v_add_co_u32 v4, vcc_lo, v4, v10
	v_add_co_ci_u32_e64 v5, null, 0, v5, vcc_lo
	v_mov_b32_e32 v17, v9
	v_mov_b32_e32 v16, v8
	v_mov_b32_e32 v15, v7
	v_mov_b32_e32 v14, v6
	v_mov_b32_e32 v13, v5
	v_mov_b32_e32 v12, v4
	v_mov_b32_e32 v11, v3
	v_mov_b32_e32 v10, v2
.LBB18_69:
	v_mov_b32_e32 v2, v10
	v_mov_b32_e32 v3, v11
	v_mov_b32_e32 v4, v12
	v_mov_b32_e32 v5, v13
	v_mov_b32_e32 v6, v14
	v_mov_b32_e32 v7, v15
	v_mov_b32_e32 v8, v16
	v_mov_b32_e32 v9, v17
.LBB18_70:
	s_or_b32 exec_lo, exec_lo, s2
	v_or_b32_e32 v29, 2, v0
	s_mov_b32 s2, exec_lo
	v_cmpx_gt_i32_e64 s10, v29
	s_cbranch_execz .LBB18_76
; %bb.71:
	s_andn2_b32 vcc_lo, exec_lo, s1
	s_cbranch_vccnz .LBB18_73
; %bb.72:
	global_load_dwordx2 v[10:11], v[20:21], off offset:16
	s_waitcnt vmcnt(0)
	v_cmp_neq_f64_e32 vcc_lo, 0, v[10:11]
	v_cndmask_b32_e64 v10, 0, 1, vcc_lo
	v_add_co_u32 v30, vcc_lo, v4, v10
	v_add_co_ci_u32_e64 v31, null, 0, v5, vcc_lo
	v_mov_b32_e32 v17, v9
	v_mov_b32_e32 v13, v5
	v_mov_b32_e32 v12, v4
	v_mov_b32_e32 v16, v8
	v_mov_b32_e32 v15, v7
	v_mov_b32_e32 v14, v6
	v_mov_b32_e32 v11, v3
	v_mov_b32_e32 v10, v2
	v_mov_b32_e32 v12, v30
	v_mov_b32_e32 v13, v31
	s_cbranch_execz .LBB18_74
	s_branch .LBB18_75
.LBB18_73:
                                        ; implicit-def: $vgpr10_vgpr11_vgpr12_vgpr13_vgpr14_vgpr15_vgpr16_vgpr17
.LBB18_74:
	v_mad_u64_u32 v[10:11], null, s14, v29, 0
	v_mad_u64_u32 v[11:12], null, s15, v29, v[11:12]
	v_lshlrev_b64 v[10:11], 3, v[10:11]
	v_add_co_u32 v10, vcc_lo, v26, v10
	v_add_co_ci_u32_e64 v11, null, v28, v11, vcc_lo
	global_load_dwordx2 v[10:11], v[10:11], off offset:512
	s_waitcnt vmcnt(0)
	v_cmp_neq_f64_e32 vcc_lo, 0, v[10:11]
	v_cndmask_b32_e64 v10, 0, 1, vcc_lo
	v_add_co_u32 v4, vcc_lo, v4, v10
	v_add_co_ci_u32_e64 v5, null, 0, v5, vcc_lo
	v_mov_b32_e32 v17, v9
	v_mov_b32_e32 v16, v8
	v_mov_b32_e32 v15, v7
	v_mov_b32_e32 v14, v6
	v_mov_b32_e32 v13, v5
	v_mov_b32_e32 v12, v4
	v_mov_b32_e32 v11, v3
	v_mov_b32_e32 v10, v2
.LBB18_75:
	v_mov_b32_e32 v2, v10
	v_mov_b32_e32 v3, v11
	v_mov_b32_e32 v4, v12
	v_mov_b32_e32 v5, v13
	v_mov_b32_e32 v6, v14
	v_mov_b32_e32 v7, v15
	v_mov_b32_e32 v8, v16
	v_mov_b32_e32 v9, v17
.LBB18_76:
	;; [unrolled: 59-line block ×3, first 2 shown]
	s_or_b32 exec_lo, exec_lo, s2
	s_or_b32 exec_lo, exec_lo, s0
	s_mov_b32 s0, exec_lo
	v_cmpx_gt_i32_e64 s9, v25
	s_cbranch_execz .LBB18_32
.LBB18_83:
	v_ashrrev_i32_e32 v12, 31, v25
	v_mul_lo_u32 v13, s15, v25
	v_mad_u64_u32 v[10:11], null, s14, v25, 0
	s_mov_b32 s2, exec_lo
	v_mul_lo_u32 v12, s14, v12
	v_add3_u32 v11, v11, v12, v13
	v_lshlrev_b64 v[12:13], 3, v[18:19]
	v_lshlrev_b64 v[10:11], 3, v[10:11]
	v_add_co_u32 v25, vcc_lo, s12, v12
	v_add_co_ci_u32_e64 v26, null, s13, v13, vcc_lo
	v_add_co_u32 v20, vcc_lo, v1, v10
	v_add_co_ci_u32_e64 v21, null, v27, v11, vcc_lo
	v_cmpx_gt_i32_e64 s10, v0
	s_cbranch_execz .LBB18_89
; %bb.84:
	s_andn2_b32 vcc_lo, exec_lo, s1
	s_cbranch_vccnz .LBB18_86
; %bb.85:
	global_load_dwordx2 v[10:11], v[20:21], off
	s_waitcnt vmcnt(0)
	v_cmp_neq_f64_e32 vcc_lo, 0, v[10:11]
	v_cndmask_b32_e64 v10, 0, 1, vcc_lo
	v_add_co_u32 v28, vcc_lo, v6, v10
	v_add_co_ci_u32_e64 v29, null, 0, v7, vcc_lo
	v_mov_b32_e32 v17, v9
	v_mov_b32_e32 v15, v7
	;; [unrolled: 1-line block ×10, first 2 shown]
	s_cbranch_execz .LBB18_87
	s_branch .LBB18_88
.LBB18_86:
                                        ; implicit-def: $vgpr10_vgpr11_vgpr12_vgpr13_vgpr14_vgpr15_vgpr16_vgpr17
.LBB18_87:
	v_mad_u64_u32 v[10:11], null, s14, v0, 0
	v_mad_u64_u32 v[11:12], null, s15, v0, v[11:12]
	v_lshlrev_b64 v[10:11], 3, v[10:11]
	v_add_co_u32 v10, vcc_lo, v25, v10
	v_add_co_ci_u32_e64 v11, null, v26, v11, vcc_lo
	global_load_dwordx2 v[10:11], v[10:11], off offset:1024
	s_waitcnt vmcnt(0)
	v_cmp_neq_f64_e32 vcc_lo, 0, v[10:11]
	v_cndmask_b32_e64 v10, 0, 1, vcc_lo
	v_add_co_u32 v6, vcc_lo, v6, v10
	v_add_co_ci_u32_e64 v7, null, 0, v7, vcc_lo
	v_mov_b32_e32 v17, v9
	v_mov_b32_e32 v16, v8
	;; [unrolled: 1-line block ×8, first 2 shown]
.LBB18_88:
	v_mov_b32_e32 v2, v10
	v_mov_b32_e32 v3, v11
	;; [unrolled: 1-line block ×8, first 2 shown]
.LBB18_89:
	s_or_b32 exec_lo, exec_lo, s2
	v_or_b32_e32 v28, 1, v0
	s_mov_b32 s2, exec_lo
	v_cmpx_gt_i32_e64 s10, v28
	s_cbranch_execz .LBB18_95
; %bb.90:
	s_andn2_b32 vcc_lo, exec_lo, s1
	s_cbranch_vccnz .LBB18_92
; %bb.91:
	global_load_dwordx2 v[10:11], v[20:21], off offset:8
	s_waitcnt vmcnt(0)
	v_cmp_neq_f64_e32 vcc_lo, 0, v[10:11]
	v_cndmask_b32_e64 v10, 0, 1, vcc_lo
	v_add_co_u32 v29, vcc_lo, v6, v10
	v_add_co_ci_u32_e64 v30, null, 0, v7, vcc_lo
	v_mov_b32_e32 v17, v9
	v_mov_b32_e32 v15, v7
	v_mov_b32_e32 v14, v6
	v_mov_b32_e32 v16, v8
	v_mov_b32_e32 v13, v5
	v_mov_b32_e32 v12, v4
	v_mov_b32_e32 v11, v3
	v_mov_b32_e32 v10, v2
	v_mov_b32_e32 v14, v29
	v_mov_b32_e32 v15, v30
	s_cbranch_execz .LBB18_93
	s_branch .LBB18_94
.LBB18_92:
                                        ; implicit-def: $vgpr10_vgpr11_vgpr12_vgpr13_vgpr14_vgpr15_vgpr16_vgpr17
.LBB18_93:
	v_mad_u64_u32 v[10:11], null, s14, v28, 0
	v_mad_u64_u32 v[11:12], null, s15, v28, v[11:12]
	v_lshlrev_b64 v[10:11], 3, v[10:11]
	v_add_co_u32 v10, vcc_lo, v25, v10
	v_add_co_ci_u32_e64 v11, null, v26, v11, vcc_lo
	global_load_dwordx2 v[10:11], v[10:11], off offset:1024
	s_waitcnt vmcnt(0)
	v_cmp_neq_f64_e32 vcc_lo, 0, v[10:11]
	v_cndmask_b32_e64 v10, 0, 1, vcc_lo
	v_add_co_u32 v6, vcc_lo, v6, v10
	v_add_co_ci_u32_e64 v7, null, 0, v7, vcc_lo
	v_mov_b32_e32 v17, v9
	v_mov_b32_e32 v16, v8
	v_mov_b32_e32 v14, v6
	v_mov_b32_e32 v15, v7
	v_mov_b32_e32 v13, v5
	v_mov_b32_e32 v12, v4
	v_mov_b32_e32 v11, v3
	v_mov_b32_e32 v10, v2
.LBB18_94:
	v_mov_b32_e32 v2, v10
	v_mov_b32_e32 v3, v11
	v_mov_b32_e32 v4, v12
	v_mov_b32_e32 v5, v13
	v_mov_b32_e32 v6, v14
	v_mov_b32_e32 v7, v15
	v_mov_b32_e32 v8, v16
	v_mov_b32_e32 v9, v17
.LBB18_95:
	s_or_b32 exec_lo, exec_lo, s2
	v_or_b32_e32 v28, 2, v0
	s_mov_b32 s2, exec_lo
	v_cmpx_gt_i32_e64 s10, v28
	s_cbranch_execz .LBB18_101
; %bb.96:
	s_andn2_b32 vcc_lo, exec_lo, s1
	s_cbranch_vccnz .LBB18_98
; %bb.97:
	global_load_dwordx2 v[10:11], v[20:21], off offset:16
	s_waitcnt vmcnt(0)
	v_cmp_neq_f64_e32 vcc_lo, 0, v[10:11]
	v_cndmask_b32_e64 v10, 0, 1, vcc_lo
	v_add_co_u32 v29, vcc_lo, v6, v10
	v_add_co_ci_u32_e64 v30, null, 0, v7, vcc_lo
	v_mov_b32_e32 v17, v9
	v_mov_b32_e32 v15, v7
	v_mov_b32_e32 v14, v6
	v_mov_b32_e32 v16, v8
	v_mov_b32_e32 v13, v5
	v_mov_b32_e32 v12, v4
	v_mov_b32_e32 v11, v3
	v_mov_b32_e32 v10, v2
	v_mov_b32_e32 v14, v29
	v_mov_b32_e32 v15, v30
	s_cbranch_execz .LBB18_99
	s_branch .LBB18_100
.LBB18_98:
                                        ; implicit-def: $vgpr10_vgpr11_vgpr12_vgpr13_vgpr14_vgpr15_vgpr16_vgpr17
.LBB18_99:
	v_mad_u64_u32 v[10:11], null, s14, v28, 0
	v_mad_u64_u32 v[11:12], null, s15, v28, v[11:12]
	v_lshlrev_b64 v[10:11], 3, v[10:11]
	v_add_co_u32 v10, vcc_lo, v25, v10
	v_add_co_ci_u32_e64 v11, null, v26, v11, vcc_lo
	global_load_dwordx2 v[10:11], v[10:11], off offset:1024
	s_waitcnt vmcnt(0)
	v_cmp_neq_f64_e32 vcc_lo, 0, v[10:11]
	v_cndmask_b32_e64 v10, 0, 1, vcc_lo
	v_add_co_u32 v6, vcc_lo, v6, v10
	v_add_co_ci_u32_e64 v7, null, 0, v7, vcc_lo
	v_mov_b32_e32 v17, v9
	v_mov_b32_e32 v16, v8
	v_mov_b32_e32 v14, v6
	v_mov_b32_e32 v15, v7
	v_mov_b32_e32 v13, v5
	v_mov_b32_e32 v12, v4
	v_mov_b32_e32 v11, v3
	v_mov_b32_e32 v10, v2
.LBB18_100:
	v_mov_b32_e32 v2, v10
	v_mov_b32_e32 v3, v11
	v_mov_b32_e32 v4, v12
	v_mov_b32_e32 v5, v13
	v_mov_b32_e32 v6, v14
	v_mov_b32_e32 v7, v15
	v_mov_b32_e32 v8, v16
	v_mov_b32_e32 v9, v17
.LBB18_101:
	;; [unrolled: 59-line block ×3, first 2 shown]
	s_or_b32 exec_lo, exec_lo, s2
	s_or_b32 exec_lo, exec_lo, s0
	s_mov_b32 s2, exec_lo
	v_cmpx_gt_i32_e64 s9, v24
	s_cbranch_execz .LBB18_133
.LBB18_108:
	v_ashrrev_i32_e32 v12, 31, v24
	v_mul_lo_u32 v13, s15, v24
	v_mad_u64_u32 v[10:11], null, s14, v24, 0
	v_mul_lo_u32 v12, s14, v12
	v_add3_u32 v11, v11, v12, v13
	v_lshlrev_b64 v[12:13], 3, v[18:19]
	v_lshlrev_b64 v[10:11], 3, v[10:11]
	v_add_co_u32 v20, s0, s12, v12
	v_add_co_ci_u32_e64 v21, null, s13, v13, s0
	v_add_co_u32 v18, s0, v1, v10
	v_add_co_ci_u32_e64 v19, null, v27, v11, s0
	v_cndmask_b32_e64 v1, 0, 1, s1
	s_mov_b32 s0, exec_lo
	v_cmpx_gt_i32_e64 s10, v0
	s_cbranch_execz .LBB18_114
; %bb.109:
	s_andn2_b32 vcc_lo, exec_lo, s1
	s_cbranch_vccnz .LBB18_111
; %bb.110:
	global_load_dwordx2 v[10:11], v[18:19], off
	s_waitcnt vmcnt(0)
	v_cmp_neq_f64_e32 vcc_lo, 0, v[10:11]
	v_cndmask_b32_e64 v10, 0, 1, vcc_lo
	v_add_co_u32 v24, vcc_lo, v8, v10
	v_add_co_ci_u32_e64 v25, null, 0, v9, vcc_lo
	v_mov_b32_e32 v17, v9
	v_mov_b32_e32 v16, v8
	;; [unrolled: 1-line block ×10, first 2 shown]
	s_cbranch_execz .LBB18_112
	s_branch .LBB18_113
.LBB18_111:
                                        ; implicit-def: $vgpr10_vgpr11_vgpr12_vgpr13_vgpr14_vgpr15_vgpr16_vgpr17
.LBB18_112:
	v_mad_u64_u32 v[10:11], null, s14, v0, 0
	v_mad_u64_u32 v[11:12], null, s15, v0, v[11:12]
	v_lshlrev_b64 v[10:11], 3, v[10:11]
	v_add_co_u32 v10, vcc_lo, v20, v10
	v_add_co_ci_u32_e64 v11, null, v21, v11, vcc_lo
	global_load_dwordx2 v[10:11], v[10:11], off offset:1536
	s_waitcnt vmcnt(0)
	v_cmp_neq_f64_e32 vcc_lo, 0, v[10:11]
	v_cndmask_b32_e64 v10, 0, 1, vcc_lo
	v_add_co_u32 v8, vcc_lo, v8, v10
	v_add_co_ci_u32_e64 v9, null, 0, v9, vcc_lo
	v_mov_b32_e32 v17, v9
	v_mov_b32_e32 v16, v8
	;; [unrolled: 1-line block ×8, first 2 shown]
.LBB18_113:
	v_mov_b32_e32 v2, v10
	v_mov_b32_e32 v3, v11
	;; [unrolled: 1-line block ×8, first 2 shown]
.LBB18_114:
	s_or_b32 exec_lo, exec_lo, s0
	v_or_b32_e32 v24, 1, v0
	s_mov_b32 s0, exec_lo
	v_cmpx_gt_i32_e64 s10, v24
	s_cbranch_execz .LBB18_120
; %bb.115:
	v_cmp_ne_u32_e32 vcc_lo, 1, v1
	s_cbranch_vccnz .LBB18_117
; %bb.116:
	global_load_dwordx2 v[10:11], v[18:19], off offset:8
	s_waitcnt vmcnt(0)
	v_cmp_neq_f64_e32 vcc_lo, 0, v[10:11]
	v_cndmask_b32_e64 v10, 0, 1, vcc_lo
	v_add_co_u32 v25, vcc_lo, v8, v10
	v_add_co_ci_u32_e64 v26, null, 0, v9, vcc_lo
	v_mov_b32_e32 v17, v9
	v_mov_b32_e32 v16, v8
	;; [unrolled: 1-line block ×10, first 2 shown]
	s_cbranch_execz .LBB18_118
	s_branch .LBB18_119
.LBB18_117:
                                        ; implicit-def: $vgpr10_vgpr11_vgpr12_vgpr13_vgpr14_vgpr15_vgpr16_vgpr17
.LBB18_118:
	v_mad_u64_u32 v[10:11], null, s14, v24, 0
	v_mad_u64_u32 v[11:12], null, s15, v24, v[11:12]
	v_lshlrev_b64 v[10:11], 3, v[10:11]
	v_add_co_u32 v10, vcc_lo, v20, v10
	v_add_co_ci_u32_e64 v11, null, v21, v11, vcc_lo
	global_load_dwordx2 v[10:11], v[10:11], off offset:1536
	s_waitcnt vmcnt(0)
	v_cmp_neq_f64_e32 vcc_lo, 0, v[10:11]
	v_cndmask_b32_e64 v10, 0, 1, vcc_lo
	v_add_co_u32 v8, vcc_lo, v8, v10
	v_add_co_ci_u32_e64 v9, null, 0, v9, vcc_lo
	v_mov_b32_e32 v17, v9
	v_mov_b32_e32 v16, v8
	;; [unrolled: 1-line block ×8, first 2 shown]
.LBB18_119:
	v_mov_b32_e32 v2, v10
	v_mov_b32_e32 v3, v11
	;; [unrolled: 1-line block ×8, first 2 shown]
.LBB18_120:
	s_or_b32 exec_lo, exec_lo, s0
	v_or_b32_e32 v24, 2, v0
	s_mov_b32 s0, exec_lo
	v_cmpx_gt_i32_e64 s10, v24
	s_cbranch_execz .LBB18_126
; %bb.121:
	v_cmp_ne_u32_e32 vcc_lo, 1, v1
	s_cbranch_vccnz .LBB18_123
; %bb.122:
	global_load_dwordx2 v[10:11], v[18:19], off offset:16
	s_waitcnt vmcnt(0)
	v_cmp_neq_f64_e32 vcc_lo, 0, v[10:11]
	v_cndmask_b32_e64 v10, 0, 1, vcc_lo
	v_add_co_u32 v25, vcc_lo, v8, v10
	v_add_co_ci_u32_e64 v26, null, 0, v9, vcc_lo
	v_mov_b32_e32 v17, v9
	v_mov_b32_e32 v16, v8
	;; [unrolled: 1-line block ×10, first 2 shown]
	s_cbranch_execz .LBB18_124
	s_branch .LBB18_125
.LBB18_123:
                                        ; implicit-def: $vgpr10_vgpr11_vgpr12_vgpr13_vgpr14_vgpr15_vgpr16_vgpr17
.LBB18_124:
	v_mad_u64_u32 v[10:11], null, s14, v24, 0
	v_mad_u64_u32 v[11:12], null, s15, v24, v[11:12]
	v_lshlrev_b64 v[10:11], 3, v[10:11]
	v_add_co_u32 v10, vcc_lo, v20, v10
	v_add_co_ci_u32_e64 v11, null, v21, v11, vcc_lo
	global_load_dwordx2 v[10:11], v[10:11], off offset:1536
	s_waitcnt vmcnt(0)
	v_cmp_neq_f64_e32 vcc_lo, 0, v[10:11]
	v_cndmask_b32_e64 v10, 0, 1, vcc_lo
	v_add_co_u32 v8, vcc_lo, v8, v10
	v_add_co_ci_u32_e64 v9, null, 0, v9, vcc_lo
	v_mov_b32_e32 v17, v9
	v_mov_b32_e32 v16, v8
	;; [unrolled: 1-line block ×8, first 2 shown]
.LBB18_125:
	v_mov_b32_e32 v2, v10
	v_mov_b32_e32 v3, v11
	;; [unrolled: 1-line block ×8, first 2 shown]
.LBB18_126:
	s_or_b32 exec_lo, exec_lo, s0
	v_or_b32_e32 v0, 3, v0
	s_mov_b32 s0, exec_lo
	v_cmpx_gt_i32_e64 s10, v0
	s_cbranch_execz .LBB18_132
; %bb.127:
	v_cmp_ne_u32_e32 vcc_lo, 1, v1
	s_cbranch_vccnz .LBB18_129
; %bb.128:
	global_load_dwordx2 v[10:11], v[18:19], off offset:24
	s_waitcnt vmcnt(0)
	v_cmp_neq_f64_e32 vcc_lo, 0, v[10:11]
	v_mov_b32_e32 v17, v9
	v_mov_b32_e32 v16, v8
	v_mov_b32_e32 v15, v7
	v_mov_b32_e32 v14, v6
	v_mov_b32_e32 v13, v5
	v_mov_b32_e32 v12, v4
	v_mov_b32_e32 v11, v3
	v_mov_b32_e32 v10, v2
	v_cndmask_b32_e64 v1, 0, 1, vcc_lo
	v_add_co_u32 v1, vcc_lo, v8, v1
	v_add_co_ci_u32_e64 v18, null, 0, v9, vcc_lo
	v_mov_b32_e32 v16, v1
	v_mov_b32_e32 v17, v18
	s_cbranch_execz .LBB18_130
	s_branch .LBB18_131
.LBB18_129:
                                        ; implicit-def: $vgpr10_vgpr11_vgpr12_vgpr13_vgpr14_vgpr15_vgpr16_vgpr17
.LBB18_130:
	v_mad_u64_u32 v[10:11], null, s14, v0, 0
	v_mov_b32_e32 v1, v11
	v_mad_u64_u32 v[0:1], null, s15, v0, v[1:2]
	v_mov_b32_e32 v11, v0
	v_lshlrev_b64 v[0:1], 3, v[10:11]
	v_add_co_u32 v0, vcc_lo, v20, v0
	v_add_co_ci_u32_e64 v1, null, v21, v1, vcc_lo
	global_load_dwordx2 v[0:1], v[0:1], off offset:1536
	s_waitcnt vmcnt(0)
	v_cmp_neq_f64_e32 vcc_lo, 0, v[0:1]
	v_cndmask_b32_e64 v0, 0, 1, vcc_lo
	v_add_co_u32 v8, vcc_lo, v8, v0
	v_add_co_ci_u32_e64 v9, null, 0, v9, vcc_lo
	v_mov_b32_e32 v17, v9
	v_mov_b32_e32 v16, v8
	;; [unrolled: 1-line block ×8, first 2 shown]
.LBB18_131:
	v_mov_b32_e32 v2, v10
	v_mov_b32_e32 v3, v11
	;; [unrolled: 1-line block ×8, first 2 shown]
.LBB18_132:
	s_or_b32 exec_lo, exec_lo, s0
.LBB18_133:
	s_or_b32 exec_lo, exec_lo, s2
.LBB18_134:
	v_lshlrev_b32_e32 v0, 5, v22
	v_lshlrev_b32_e32 v1, 3, v23
	s_mov_b32 s0, exec_lo
	v_and_or_b32 v0, 0xfffff800, v0, v1
	ds_write2st64_b64 v0, v[2:3], v[4:5] offset1:1
	ds_write2st64_b64 v0, v[6:7], v[8:9] offset0:2 offset1:3
	s_waitcnt lgkmcnt(0)
	s_barrier
	buffer_gl0_inv
	v_cmpx_gt_u32_e32 0x100, v22
	s_cbranch_execz .LBB18_137
; %bb.135:
	v_lshlrev_b32_e32 v12, 3, v22
	ds_read2st64_b64 v[0:3], v12 offset1:4
	ds_read2st64_b64 v[4:7], v12 offset0:8 offset1:12
	ds_read2st64_b64 v[8:11], v12 offset0:16 offset1:20
	s_waitcnt lgkmcnt(2)
	v_add_co_u32 v13, vcc_lo, v0, v2
	v_add_co_ci_u32_e64 v14, null, v1, v3, vcc_lo
	ds_read2st64_b64 v[0:3], v12 offset0:24 offset1:28
	s_waitcnt lgkmcnt(2)
	v_add_co_u32 v4, vcc_lo, v13, v4
	v_add_co_ci_u32_e64 v5, null, v14, v5, vcc_lo
	v_add_co_u32 v13, vcc_lo, v4, v6
	v_add_co_ci_u32_e64 v14, null, v5, v7, vcc_lo
	ds_read2st64_b64 v[4:7], v12 offset0:32 offset1:36
	s_waitcnt lgkmcnt(2)
	v_add_co_u32 v8, vcc_lo, v13, v8
	v_add_co_ci_u32_e64 v9, null, v14, v9, vcc_lo
	;; [unrolled: 6-line block ×5, first 2 shown]
	v_add_co_u32 v8, vcc_lo, v8, v10
	v_add_co_ci_u32_e64 v9, null, v9, v11, vcc_lo
	s_waitcnt lgkmcnt(1)
	v_add_co_u32 v0, vcc_lo, v8, v0
	v_add_co_ci_u32_e64 v1, null, v9, v1, vcc_lo
	v_add_co_u32 v0, vcc_lo, v0, v2
	v_add_co_ci_u32_e64 v1, null, v1, v3, vcc_lo
	v_add_nc_u32_e32 v2, s5, v22
	s_waitcnt lgkmcnt(0)
	v_add_co_u32 v0, vcc_lo, v0, v4
	v_add_co_ci_u32_e64 v1, null, v1, v5, vcc_lo
	v_add_co_u32 v0, vcc_lo, v0, v6
	v_add_co_ci_u32_e64 v1, null, v1, v7, vcc_lo
	v_cmp_gt_i32_e32 vcc_lo, s9, v2
	ds_write_b64 v12, v[0:1]
	s_and_b32 exec_lo, exec_lo, vcc_lo
	s_cbranch_execz .LBB18_137
; %bb.136:
	v_ashrrev_i32_e32 v3, 31, v2
	v_lshlrev_b64 v[2:3], 3, v[2:3]
	v_add_co_u32 v2, vcc_lo, s16, v2
	v_add_co_ci_u32_e64 v3, null, s17, v3, vcc_lo
	global_store_dwordx2 v[2:3], v[0:1], off
.LBB18_137:
	s_endpgm
	.section	.rodata,"a",@progbits
	.p2align	6, 0x0
	.amdhsa_kernel _ZN9rocsparseL14nnz_kernel_rowILi64ELi16ElidEEv16rocsparse_order_T2_S2_PKT3_lPT1_
		.amdhsa_group_segment_fixed_size 32768
		.amdhsa_private_segment_fixed_size 0
		.amdhsa_kernarg_size 296
		.amdhsa_user_sgpr_count 6
		.amdhsa_user_sgpr_private_segment_buffer 1
		.amdhsa_user_sgpr_dispatch_ptr 0
		.amdhsa_user_sgpr_queue_ptr 0
		.amdhsa_user_sgpr_kernarg_segment_ptr 1
		.amdhsa_user_sgpr_dispatch_id 0
		.amdhsa_user_sgpr_flat_scratch_init 0
		.amdhsa_user_sgpr_private_segment_size 0
		.amdhsa_wavefront_size32 1
		.amdhsa_uses_dynamic_stack 0
		.amdhsa_system_sgpr_private_segment_wavefront_offset 0
		.amdhsa_system_sgpr_workgroup_id_x 1
		.amdhsa_system_sgpr_workgroup_id_y 0
		.amdhsa_system_sgpr_workgroup_id_z 0
		.amdhsa_system_sgpr_workgroup_info 0
		.amdhsa_system_vgpr_workitem_id 1
		.amdhsa_next_free_vgpr 42
		.amdhsa_next_free_sgpr 22
		.amdhsa_reserve_vcc 1
		.amdhsa_reserve_flat_scratch 0
		.amdhsa_float_round_mode_32 0
		.amdhsa_float_round_mode_16_64 0
		.amdhsa_float_denorm_mode_32 3
		.amdhsa_float_denorm_mode_16_64 3
		.amdhsa_dx10_clamp 1
		.amdhsa_ieee_mode 1
		.amdhsa_fp16_overflow 0
		.amdhsa_workgroup_processor_mode 1
		.amdhsa_memory_ordered 1
		.amdhsa_forward_progress 1
		.amdhsa_shared_vgpr_count 0
		.amdhsa_exception_fp_ieee_invalid_op 0
		.amdhsa_exception_fp_denorm_src 0
		.amdhsa_exception_fp_ieee_div_zero 0
		.amdhsa_exception_fp_ieee_overflow 0
		.amdhsa_exception_fp_ieee_underflow 0
		.amdhsa_exception_fp_ieee_inexact 0
		.amdhsa_exception_int_div_zero 0
	.end_amdhsa_kernel
	.section	.text._ZN9rocsparseL14nnz_kernel_rowILi64ELi16ElidEEv16rocsparse_order_T2_S2_PKT3_lPT1_,"axG",@progbits,_ZN9rocsparseL14nnz_kernel_rowILi64ELi16ElidEEv16rocsparse_order_T2_S2_PKT3_lPT1_,comdat
.Lfunc_end18:
	.size	_ZN9rocsparseL14nnz_kernel_rowILi64ELi16ElidEEv16rocsparse_order_T2_S2_PKT3_lPT1_, .Lfunc_end18-_ZN9rocsparseL14nnz_kernel_rowILi64ELi16ElidEEv16rocsparse_order_T2_S2_PKT3_lPT1_
                                        ; -- End function
	.set _ZN9rocsparseL14nnz_kernel_rowILi64ELi16ElidEEv16rocsparse_order_T2_S2_PKT3_lPT1_.num_vgpr, 42
	.set _ZN9rocsparseL14nnz_kernel_rowILi64ELi16ElidEEv16rocsparse_order_T2_S2_PKT3_lPT1_.num_agpr, 0
	.set _ZN9rocsparseL14nnz_kernel_rowILi64ELi16ElidEEv16rocsparse_order_T2_S2_PKT3_lPT1_.numbered_sgpr, 22
	.set _ZN9rocsparseL14nnz_kernel_rowILi64ELi16ElidEEv16rocsparse_order_T2_S2_PKT3_lPT1_.num_named_barrier, 0
	.set _ZN9rocsparseL14nnz_kernel_rowILi64ELi16ElidEEv16rocsparse_order_T2_S2_PKT3_lPT1_.private_seg_size, 0
	.set _ZN9rocsparseL14nnz_kernel_rowILi64ELi16ElidEEv16rocsparse_order_T2_S2_PKT3_lPT1_.uses_vcc, 1
	.set _ZN9rocsparseL14nnz_kernel_rowILi64ELi16ElidEEv16rocsparse_order_T2_S2_PKT3_lPT1_.uses_flat_scratch, 0
	.set _ZN9rocsparseL14nnz_kernel_rowILi64ELi16ElidEEv16rocsparse_order_T2_S2_PKT3_lPT1_.has_dyn_sized_stack, 0
	.set _ZN9rocsparseL14nnz_kernel_rowILi64ELi16ElidEEv16rocsparse_order_T2_S2_PKT3_lPT1_.has_recursion, 0
	.set _ZN9rocsparseL14nnz_kernel_rowILi64ELi16ElidEEv16rocsparse_order_T2_S2_PKT3_lPT1_.has_indirect_call, 0
	.section	.AMDGPU.csdata,"",@progbits
; Kernel info:
; codeLenInByte = 8168
; TotalNumSgprs: 24
; NumVgprs: 42
; ScratchSize: 0
; MemoryBound: 0
; FloatMode: 240
; IeeeMode: 1
; LDSByteSize: 32768 bytes/workgroup (compile time only)
; SGPRBlocks: 0
; VGPRBlocks: 5
; NumSGPRsForWavesPerEU: 24
; NumVGPRsForWavesPerEU: 42
; Occupancy: 16
; WaveLimiterHint : 0
; COMPUTE_PGM_RSRC2:SCRATCH_EN: 0
; COMPUTE_PGM_RSRC2:USER_SGPR: 6
; COMPUTE_PGM_RSRC2:TRAP_HANDLER: 0
; COMPUTE_PGM_RSRC2:TGID_X_EN: 1
; COMPUTE_PGM_RSRC2:TGID_Y_EN: 0
; COMPUTE_PGM_RSRC2:TGID_Z_EN: 0
; COMPUTE_PGM_RSRC2:TIDIG_COMP_CNT: 1
	.section	.text._ZN9rocsparseL14nnz_kernel_colILi256ElidEEv16rocsparse_order_T1_S2_PKT2_lPT0_,"axG",@progbits,_ZN9rocsparseL14nnz_kernel_colILi256ElidEEv16rocsparse_order_T1_S2_PKT2_lPT0_,comdat
	.globl	_ZN9rocsparseL14nnz_kernel_colILi256ElidEEv16rocsparse_order_T1_S2_PKT2_lPT0_ ; -- Begin function _ZN9rocsparseL14nnz_kernel_colILi256ElidEEv16rocsparse_order_T1_S2_PKT2_lPT0_
	.p2align	8
	.type	_ZN9rocsparseL14nnz_kernel_colILi256ElidEEv16rocsparse_order_T1_S2_PKT2_lPT0_,@function
_ZN9rocsparseL14nnz_kernel_colILi256ElidEEv16rocsparse_order_T1_S2_PKT2_lPT0_: ; @_ZN9rocsparseL14nnz_kernel_colILi256ElidEEv16rocsparse_order_T1_S2_PKT2_lPT0_
; %bb.0:
	s_clause 0x1
	s_load_dwordx2 s[8:9], s[4:5], 0x0
	s_load_dwordx4 s[0:3], s[4:5], 0x10
	s_waitcnt lgkmcnt(0)
	s_ashr_i32 s7, s9, 31
	s_lshr_b32 s7, s7, 24
	s_add_i32 s7, s9, s7
	s_and_b32 s10, s7, 0xffffff00
	s_cmp_eq_u32 s8, 1
	s_cbranch_scc1 .LBB19_6
; %bb.1:
	v_mov_b32_e32 v1, 0
	v_mov_b32_e32 v2, 0
	s_cmpk_lt_i32 s9, 0x100
	s_cbranch_scc1 .LBB19_7
; %bb.2:
	v_mad_u64_u32 v[1:2], null, s2, v0, 0
	s_ashr_i32 s7, s6, 31
	s_lshl_b64 s[12:13], s[6:7], 3
	s_add_u32 s7, s0, s12
	s_addc_u32 s8, s1, s13
	v_mad_u64_u32 v[2:3], null, s3, v0, v[2:3]
	s_lshl_b64 s[12:13], s[2:3], 11
	v_lshlrev_b64 v[3:4], 3, v[1:2]
	v_mov_b32_e32 v1, 0
	v_mov_b32_e32 v2, 0
	v_add_co_u32 v3, vcc_lo, s7, v3
	v_add_co_ci_u32_e64 v4, null, s8, v4, vcc_lo
	s_mov_b32 s7, 0
	s_branch .LBB19_4
	.p2align	6
.LBB19_3:                               ;   in Loop: Header=BB19_4 Depth=1
	s_or_b32 exec_lo, exec_lo, s8
	v_add_co_u32 v3, vcc_lo, v3, s12
	v_add_co_ci_u32_e64 v4, null, s13, v4, vcc_lo
	s_addk_i32 s7, 0x100
	s_cmp_ge_i32 s7, s10
	s_cbranch_scc1 .LBB19_7
.LBB19_4:                               ; =>This Inner Loop Header: Depth=1
	v_add_nc_u32_e32 v5, s7, v0
	s_mov_b32 s8, exec_lo
	v_cmpx_gt_i32_e64 s9, v5
	s_cbranch_execz .LBB19_3
; %bb.5:                                ;   in Loop: Header=BB19_4 Depth=1
	global_load_dwordx2 v[5:6], v[3:4], off
	s_waitcnt vmcnt(0)
	v_cmp_neq_f64_e32 vcc_lo, 0, v[5:6]
	v_cndmask_b32_e64 v5, 0, 1, vcc_lo
	v_add_co_u32 v1, vcc_lo, v1, v5
	v_add_co_ci_u32_e64 v2, null, 0, v2, vcc_lo
	s_branch .LBB19_3
.LBB19_6:
                                        ; implicit-def: $vgpr1_vgpr2
	s_load_dwordx2 s[4:5], s[4:5], 0x20
	s_cbranch_execnz .LBB19_10
	s_branch .LBB19_16
.LBB19_7:
	v_add_nc_u32_e32 v3, s10, v0
	s_mov_b32 s8, exec_lo
	v_cmpx_gt_i32_e64 s9, v3
	s_cbranch_execz .LBB19_9
; %bb.8:
	v_ashrrev_i32_e32 v5, 31, v3
	v_mul_lo_u32 v6, s3, v3
	v_mad_u64_u32 v[3:4], null, s2, v3, 0
	s_ashr_i32 s7, s6, 31
	v_mul_lo_u32 v5, s2, v5
	s_lshl_b64 s[12:13], s[6:7], 3
	v_add3_u32 v4, v4, v5, v6
	v_lshlrev_b64 v[3:4], 3, v[3:4]
	v_add_co_u32 v3, vcc_lo, s0, v3
	v_add_co_ci_u32_e64 v4, null, s1, v4, vcc_lo
	v_add_co_u32 v3, vcc_lo, v3, s12
	v_add_co_ci_u32_e64 v4, null, s13, v4, vcc_lo
	global_load_dwordx2 v[3:4], v[3:4], off
	s_waitcnt vmcnt(0)
	v_cmp_neq_f64_e32 vcc_lo, 0, v[3:4]
	v_cndmask_b32_e64 v3, 0, 1, vcc_lo
	v_add_co_u32 v1, vcc_lo, v1, v3
	v_add_co_ci_u32_e64 v2, null, 0, v2, vcc_lo
.LBB19_9:
	s_or_b32 exec_lo, exec_lo, s8
	s_load_dwordx2 s[4:5], s[4:5], 0x20
	s_branch .LBB19_16
.LBB19_10:
	v_cmp_gt_i32_e32 vcc_lo, s9, v0
	s_ashr_i32 s7, s6, 31
	s_mul_hi_u32 s8, s2, s6
	s_mul_i32 s7, s2, s7
	s_mul_i32 s3, s3, s6
	v_cndmask_b32_e32 v1, 0, v0, vcc_lo
	s_add_i32 s7, s8, s7
	s_mul_i32 s2, s2, s6
	s_add_i32 s3, s7, s3
	s_lshl_b64 s[2:3], s[2:3], 3
	v_lshlrev_b32_e32 v3, 3, v1
	s_add_u32 s0, s0, s2
	s_addc_u32 s1, s1, s3
	v_mov_b32_e32 v1, 0
	v_mov_b32_e32 v2, 0
	v_add_co_u32 v3, s0, s0, v3
	v_add_co_ci_u32_e64 v4, null, s1, 0, s0
	s_cmpk_lt_i32 s9, 0x100
	s_mov_b32 s1, 0
	s_cbranch_scc1 .LBB19_13
; %bb.11:
	v_mov_b32_e32 v1, 0
	v_mov_b32_e32 v6, v4
	;; [unrolled: 1-line block ×4, first 2 shown]
	.p2align	6
.LBB19_12:                              ; =>This Inner Loop Header: Depth=1
	global_load_dwordx2 v[7:8], v[5:6], off
	v_add_co_u32 v5, vcc_lo, 0x800, v5
	v_add_co_ci_u32_e64 v6, null, 0, v6, vcc_lo
	s_addk_i32 s1, 0x100
	s_cmp_ge_i32 s1, s10
	s_waitcnt vmcnt(0)
	v_cmp_neq_f64_e64 s0, 0, v[7:8]
	v_cndmask_b32_e64 v7, 0, 1, s0
	v_add_co_u32 v1, vcc_lo, v1, v7
	v_add_co_ci_u32_e64 v2, null, 0, v2, vcc_lo
	s_cbranch_scc0 .LBB19_12
.LBB19_13:
	v_add_nc_u32_e32 v5, s10, v0
	s_mov_b32 s0, exec_lo
	v_cmpx_gt_i32_e64 s9, v5
	s_cbranch_execz .LBB19_15
; %bb.14:
	s_ashr_i32 s11, s10, 31
	s_lshl_b64 s[2:3], s[10:11], 3
	v_add_co_u32 v3, vcc_lo, v3, s2
	v_add_co_ci_u32_e64 v4, null, s3, v4, vcc_lo
	global_load_dwordx2 v[3:4], v[3:4], off
	s_waitcnt vmcnt(0)
	v_cmp_neq_f64_e32 vcc_lo, 0, v[3:4]
	v_cndmask_b32_e64 v3, 0, 1, vcc_lo
	v_add_co_u32 v1, vcc_lo, v1, v3
	v_add_co_ci_u32_e64 v2, null, 0, v2, vcc_lo
.LBB19_15:
	s_or_b32 exec_lo, exec_lo, s0
.LBB19_16:
	v_lshlrev_b32_e32 v3, 3, v0
	s_cmpk_lt_i32 s9, 0x100
	s_mov_b32 s0, -1
	v_cmp_eq_u32_e32 vcc_lo, 0, v0
	ds_write_b64 v3, v[1:2]
	s_waitcnt lgkmcnt(0)
	s_cbranch_scc0 .LBB19_27
; %bb.17:
	s_cmp_gt_i32 s9, 1
	s_mov_b32 s2, 1
	s_cselect_b32 s0, -1, 0
	s_barrier
	s_and_b32 s1, vcc_lo, s0
	buffer_gl0_inv
	s_and_saveexec_b32 s0, s1
	s_cbranch_execz .LBB19_26
; %bb.18:
	v_mov_b32_e32 v1, 0
	s_add_i32 s3, s9, -2
	s_add_i32 s1, s9, -1
	s_cmp_lt_u32 s3, 7
	ds_read_b64 v[1:2], v1
	s_cbranch_scc1 .LBB19_22
; %bb.19:
	s_and_b32 s2, s1, -8
	s_mov_b32 s7, 0
	s_mov_b32 s3, 8
	s_inst_prefetch 0x1
	.p2align	6
.LBB19_20:                              ; =>This Inner Loop Header: Depth=1
	v_mov_b32_e32 v16, s3
	s_mov_b32 s8, s7
	s_add_i32 s7, s7, 8
	s_add_i32 s3, s3, 64
	s_cmp_lg_u32 s2, s7
	ds_read2_b64 v[4:7], v16 offset1:1
	ds_read2_b64 v[8:11], v16 offset0:2 offset1:3
	ds_read2_b64 v[12:15], v16 offset0:4 offset1:5
	s_waitcnt lgkmcnt(2)
	v_add_co_u32 v1, vcc_lo, v1, v4
	v_add_co_ci_u32_e64 v2, null, v2, v5, vcc_lo
	v_add_co_u32 v1, vcc_lo, v1, v6
	v_add_co_ci_u32_e64 v2, null, v2, v7, vcc_lo
	ds_read2_b64 v[4:7], v16 offset0:6 offset1:7
	s_waitcnt lgkmcnt(2)
	v_add_co_u32 v1, vcc_lo, v1, v8
	v_add_co_ci_u32_e64 v2, null, v2, v9, vcc_lo
	v_add_co_u32 v1, vcc_lo, v1, v10
	v_add_co_ci_u32_e64 v2, null, v2, v11, vcc_lo
	s_waitcnt lgkmcnt(1)
	v_add_co_u32 v1, vcc_lo, v1, v12
	v_add_co_ci_u32_e64 v2, null, v2, v13, vcc_lo
	v_add_co_u32 v1, vcc_lo, v1, v14
	v_add_co_ci_u32_e64 v2, null, v2, v15, vcc_lo
	;; [unrolled: 5-line block ×3, first 2 shown]
	s_cbranch_scc1 .LBB19_20
; %bb.21:
	s_inst_prefetch 0x2
	s_add_i32 s2, s8, 9
.LBB19_22:
	s_and_b32 s1, s1, 7
	s_cmp_eq_u32 s1, 0
	s_cbranch_scc1 .LBB19_25
; %bb.23:
	s_lshl_b32 s2, s2, 3
.LBB19_24:                              ; =>This Inner Loop Header: Depth=1
	v_mov_b32_e32 v4, s2
	s_add_i32 s1, s1, -1
	s_add_i32 s2, s2, 8
	s_cmp_lg_u32 s1, 0
	ds_read_b64 v[4:5], v4
	s_waitcnt lgkmcnt(0)
	v_add_co_u32 v1, vcc_lo, v1, v4
	v_add_co_ci_u32_e64 v2, null, v2, v5, vcc_lo
	s_cbranch_scc1 .LBB19_24
.LBB19_25:
	v_mov_b32_e32 v4, 0
	s_waitcnt lgkmcnt(0)
	ds_write_b64 v4, v[1:2]
.LBB19_26:
	s_or_b32 exec_lo, exec_lo, s0
	s_mov_b32 s0, 0
	s_waitcnt lgkmcnt(0)
	s_barrier
.LBB19_27:
	s_and_b32 vcc_lo, exec_lo, s0
	s_cbranch_vccz .LBB19_45
; %bb.28:
	s_mov_b32 s0, exec_lo
	s_barrier
	buffer_gl0_inv
	v_cmpx_gt_u32_e32 0x80, v0
	s_cbranch_execz .LBB19_30
; %bb.29:
	ds_read2st64_b64 v[4:7], v3 offset1:2
	s_waitcnt lgkmcnt(0)
	v_add_co_u32 v1, vcc_lo, v4, v6
	v_add_co_ci_u32_e64 v2, null, v5, v7, vcc_lo
	ds_write_b64 v3, v[1:2]
.LBB19_30:
	s_or_b32 exec_lo, exec_lo, s0
	s_mov_b32 s0, exec_lo
	s_waitcnt lgkmcnt(0)
	s_barrier
	buffer_gl0_inv
	v_cmpx_gt_u32_e32 64, v0
	s_cbranch_execz .LBB19_32
; %bb.31:
	ds_read2st64_b64 v[4:7], v3 offset1:1
	s_waitcnt lgkmcnt(0)
	v_add_co_u32 v1, vcc_lo, v4, v6
	v_add_co_ci_u32_e64 v2, null, v5, v7, vcc_lo
	ds_write_b64 v3, v[1:2]
.LBB19_32:
	s_or_b32 exec_lo, exec_lo, s0
	s_mov_b32 s0, exec_lo
	s_waitcnt lgkmcnt(0)
	s_barrier
	buffer_gl0_inv
	v_cmpx_gt_u32_e32 32, v0
	s_cbranch_execz .LBB19_34
; %bb.33:
	ds_read2_b64 v[4:7], v3 offset1:32
	s_waitcnt lgkmcnt(0)
	v_add_co_u32 v1, vcc_lo, v4, v6
	v_add_co_ci_u32_e64 v2, null, v5, v7, vcc_lo
	ds_write_b64 v3, v[1:2]
.LBB19_34:
	s_or_b32 exec_lo, exec_lo, s0
	s_mov_b32 s0, exec_lo
	s_waitcnt lgkmcnt(0)
	s_barrier
	buffer_gl0_inv
	v_cmpx_gt_u32_e32 16, v0
	s_cbranch_execz .LBB19_36
; %bb.35:
	ds_read2_b64 v[4:7], v3 offset1:16
	s_waitcnt lgkmcnt(0)
	v_add_co_u32 v1, vcc_lo, v4, v6
	v_add_co_ci_u32_e64 v2, null, v5, v7, vcc_lo
	ds_write_b64 v3, v[1:2]
.LBB19_36:
	;; [unrolled: 14-line block ×5, first 2 shown]
	s_or_b32 exec_lo, exec_lo, s0
	s_mov_b32 s0, exec_lo
	s_waitcnt lgkmcnt(0)
	s_barrier
	buffer_gl0_inv
	v_cmpx_eq_u32_e32 0, v0
	s_cbranch_execz .LBB19_44
; %bb.43:
	v_mov_b32_e32 v5, 0
	ds_read_b128 v[1:4], v5
	s_waitcnt lgkmcnt(0)
	v_add_co_u32 v1, vcc_lo, v1, v3
	v_add_co_ci_u32_e64 v2, null, v2, v4, vcc_lo
	ds_write_b64 v5, v[1:2]
.LBB19_44:
	s_or_b32 exec_lo, exec_lo, s0
	s_waitcnt lgkmcnt(0)
	s_barrier
.LBB19_45:
	buffer_gl0_inv
	s_mov_b32 s0, exec_lo
	v_cmpx_eq_u32_e32 0, v0
	s_cbranch_execz .LBB19_47
; %bb.46:
	v_mov_b32_e32 v2, 0
	s_ashr_i32 s7, s6, 31
	s_lshl_b64 s[0:1], s[6:7], 3
	s_add_u32 s0, s4, s0
	ds_read_b64 v[0:1], v2
	s_addc_u32 s1, s5, s1
	s_waitcnt lgkmcnt(0)
	global_store_dwordx2 v2, v[0:1], s[0:1]
.LBB19_47:
	s_endpgm
	.section	.rodata,"a",@progbits
	.p2align	6, 0x0
	.amdhsa_kernel _ZN9rocsparseL14nnz_kernel_colILi256ElidEEv16rocsparse_order_T1_S2_PKT2_lPT0_
		.amdhsa_group_segment_fixed_size 2048
		.amdhsa_private_segment_fixed_size 0
		.amdhsa_kernarg_size 40
		.amdhsa_user_sgpr_count 6
		.amdhsa_user_sgpr_private_segment_buffer 1
		.amdhsa_user_sgpr_dispatch_ptr 0
		.amdhsa_user_sgpr_queue_ptr 0
		.amdhsa_user_sgpr_kernarg_segment_ptr 1
		.amdhsa_user_sgpr_dispatch_id 0
		.amdhsa_user_sgpr_flat_scratch_init 0
		.amdhsa_user_sgpr_private_segment_size 0
		.amdhsa_wavefront_size32 1
		.amdhsa_uses_dynamic_stack 0
		.amdhsa_system_sgpr_private_segment_wavefront_offset 0
		.amdhsa_system_sgpr_workgroup_id_x 1
		.amdhsa_system_sgpr_workgroup_id_y 0
		.amdhsa_system_sgpr_workgroup_id_z 0
		.amdhsa_system_sgpr_workgroup_info 0
		.amdhsa_system_vgpr_workitem_id 0
		.amdhsa_next_free_vgpr 17
		.amdhsa_next_free_sgpr 14
		.amdhsa_reserve_vcc 1
		.amdhsa_reserve_flat_scratch 0
		.amdhsa_float_round_mode_32 0
		.amdhsa_float_round_mode_16_64 0
		.amdhsa_float_denorm_mode_32 3
		.amdhsa_float_denorm_mode_16_64 3
		.amdhsa_dx10_clamp 1
		.amdhsa_ieee_mode 1
		.amdhsa_fp16_overflow 0
		.amdhsa_workgroup_processor_mode 1
		.amdhsa_memory_ordered 1
		.amdhsa_forward_progress 1
		.amdhsa_shared_vgpr_count 0
		.amdhsa_exception_fp_ieee_invalid_op 0
		.amdhsa_exception_fp_denorm_src 0
		.amdhsa_exception_fp_ieee_div_zero 0
		.amdhsa_exception_fp_ieee_overflow 0
		.amdhsa_exception_fp_ieee_underflow 0
		.amdhsa_exception_fp_ieee_inexact 0
		.amdhsa_exception_int_div_zero 0
	.end_amdhsa_kernel
	.section	.text._ZN9rocsparseL14nnz_kernel_colILi256ElidEEv16rocsparse_order_T1_S2_PKT2_lPT0_,"axG",@progbits,_ZN9rocsparseL14nnz_kernel_colILi256ElidEEv16rocsparse_order_T1_S2_PKT2_lPT0_,comdat
.Lfunc_end19:
	.size	_ZN9rocsparseL14nnz_kernel_colILi256ElidEEv16rocsparse_order_T1_S2_PKT2_lPT0_, .Lfunc_end19-_ZN9rocsparseL14nnz_kernel_colILi256ElidEEv16rocsparse_order_T1_S2_PKT2_lPT0_
                                        ; -- End function
	.set _ZN9rocsparseL14nnz_kernel_colILi256ElidEEv16rocsparse_order_T1_S2_PKT2_lPT0_.num_vgpr, 17
	.set _ZN9rocsparseL14nnz_kernel_colILi256ElidEEv16rocsparse_order_T1_S2_PKT2_lPT0_.num_agpr, 0
	.set _ZN9rocsparseL14nnz_kernel_colILi256ElidEEv16rocsparse_order_T1_S2_PKT2_lPT0_.numbered_sgpr, 14
	.set _ZN9rocsparseL14nnz_kernel_colILi256ElidEEv16rocsparse_order_T1_S2_PKT2_lPT0_.num_named_barrier, 0
	.set _ZN9rocsparseL14nnz_kernel_colILi256ElidEEv16rocsparse_order_T1_S2_PKT2_lPT0_.private_seg_size, 0
	.set _ZN9rocsparseL14nnz_kernel_colILi256ElidEEv16rocsparse_order_T1_S2_PKT2_lPT0_.uses_vcc, 1
	.set _ZN9rocsparseL14nnz_kernel_colILi256ElidEEv16rocsparse_order_T1_S2_PKT2_lPT0_.uses_flat_scratch, 0
	.set _ZN9rocsparseL14nnz_kernel_colILi256ElidEEv16rocsparse_order_T1_S2_PKT2_lPT0_.has_dyn_sized_stack, 0
	.set _ZN9rocsparseL14nnz_kernel_colILi256ElidEEv16rocsparse_order_T1_S2_PKT2_lPT0_.has_recursion, 0
	.set _ZN9rocsparseL14nnz_kernel_colILi256ElidEEv16rocsparse_order_T1_S2_PKT2_lPT0_.has_indirect_call, 0
	.section	.AMDGPU.csdata,"",@progbits
; Kernel info:
; codeLenInByte = 1828
; TotalNumSgprs: 16
; NumVgprs: 17
; ScratchSize: 0
; MemoryBound: 0
; FloatMode: 240
; IeeeMode: 1
; LDSByteSize: 2048 bytes/workgroup (compile time only)
; SGPRBlocks: 0
; VGPRBlocks: 2
; NumSGPRsForWavesPerEU: 16
; NumVGPRsForWavesPerEU: 17
; Occupancy: 16
; WaveLimiterHint : 0
; COMPUTE_PGM_RSRC2:SCRATCH_EN: 0
; COMPUTE_PGM_RSRC2:USER_SGPR: 6
; COMPUTE_PGM_RSRC2:TRAP_HANDLER: 0
; COMPUTE_PGM_RSRC2:TGID_X_EN: 1
; COMPUTE_PGM_RSRC2:TGID_Y_EN: 0
; COMPUTE_PGM_RSRC2:TGID_Z_EN: 0
; COMPUTE_PGM_RSRC2:TIDIG_COMP_CNT: 0
	.section	.text._ZN9rocsparseL14nnz_kernel_rowILi64ELi16Eli21rocsparse_complex_numIfEEEv16rocsparse_order_T2_S4_PKT3_lPT1_,"axG",@progbits,_ZN9rocsparseL14nnz_kernel_rowILi64ELi16Eli21rocsparse_complex_numIfEEEv16rocsparse_order_T2_S4_PKT3_lPT1_,comdat
	.globl	_ZN9rocsparseL14nnz_kernel_rowILi64ELi16Eli21rocsparse_complex_numIfEEEv16rocsparse_order_T2_S4_PKT3_lPT1_ ; -- Begin function _ZN9rocsparseL14nnz_kernel_rowILi64ELi16Eli21rocsparse_complex_numIfEEEv16rocsparse_order_T2_S4_PKT3_lPT1_
	.p2align	8
	.type	_ZN9rocsparseL14nnz_kernel_rowILi64ELi16Eli21rocsparse_complex_numIfEEEv16rocsparse_order_T2_S4_PKT3_lPT1_,@function
_ZN9rocsparseL14nnz_kernel_rowILi64ELi16Eli21rocsparse_complex_numIfEEEv16rocsparse_order_T2_S4_PKT3_lPT1_: ; @_ZN9rocsparseL14nnz_kernel_rowILi64ELi16Eli21rocsparse_complex_numIfEEEv16rocsparse_order_T2_S4_PKT3_lPT1_
; %bb.0:
	s_clause 0x2
	s_load_dword s0, s[4:5], 0x34
	s_load_dwordx8 s[8:15], s[4:5], 0x0
	s_load_dwordx2 s[16:17], s[4:5], 0x20
	s_waitcnt lgkmcnt(0)
	s_lshl_b32 s11, s6, 8
	v_mov_b32_e32 v2, 0
	s_mov_b32 s20, 0
	s_mov_b32 s19, exec_lo
	v_mov_b32_e32 v3, v2
	v_mov_b32_e32 v4, v2
	;; [unrolled: 1-line block ×7, first 2 shown]
	s_and_b32 s0, s0, 0xffff
	v_mad_u32_u24 v22, v1, s0, v0
	s_ashr_i32 s0, s10, 31
	s_lshr_b32 s0, s0, 26
	s_add_i32 s18, s10, s0
	v_and_b32_e32 v23, 63, v22
	v_lshrrev_b32_e32 v0, 4, v22
	s_andn2_b32 s18, s18, 63
	v_or_b32_e32 v18, s11, v23
	v_and_b32_e32 v0, 0x7ffffc, v0
	v_or_b32_e32 v26, 64, v18
	v_or_b32_e32 v25, 0x80, v18
	;; [unrolled: 1-line block ×3, first 2 shown]
	v_cmpx_gt_i32_e64 s18, v0
	s_cbranch_execz .LBB20_28
; %bb.1:
	v_lshrrev_b32_e32 v31, 6, v22
	v_add_nc_u32_e32 v3, s11, v23
	v_cmp_gt_i32_e64 s0, s9, v18
	v_cmp_gt_i32_e64 s1, s9, v26
	;; [unrolled: 1-line block ×3, first 2 shown]
	v_lshlrev_b32_e32 v27, 2, v31
	v_ashrrev_i32_e32 v4, 31, v3
	v_mul_lo_u32 v16, s15, v3
	v_mad_u64_u32 v[5:6], null, s14, v3, 0
	v_or_b32_e32 v13, 3, v27
	v_mul_lo_u32 v17, s14, v4
	v_or_b32_e32 v19, 2, v27
	v_add_nc_u32_e32 v15, 64, v3
	v_lshlrev_b64 v[9:10], 3, v[3:4]
	v_mad_u64_u32 v[7:8], null, s14, v13, 0
	v_mad_u64_u32 v[11:12], null, s14, v19, 0
	v_ashrrev_i32_e32 v4, 31, v15
	v_add3_u32 v6, v6, v17, v16
	v_mul_lo_u32 v20, s15, v15
	v_lshlrev_b32_e32 v35, 5, v31
	v_mov_b32_e32 v1, v8
	v_mul_lo_u32 v21, s14, v4
	v_lshlrev_b64 v[4:5], 3, v[5:6]
	v_add_nc_u32_e32 v28, 0x80, v3
	v_mad_u64_u32 v[16:17], null, s14, v27, s[14:15]
	v_mad_u64_u32 v[13:14], null, s15, v13, v[1:2]
	;; [unrolled: 1-line block ×3, first 2 shown]
	v_mov_b32_e32 v1, v12
	v_ashrrev_i32_e32 v29, 31, v28
	v_cmp_gt_i32_e64 s3, s9, v24
	s_cmp_lg_u32 s8, 1
	v_mov_b32_e32 v8, v13
	v_mad_u64_u32 v[12:13], null, s15, v19, v[1:2]
	v_add_co_u32 v1, vcc_lo, v4, v35
	v_lshlrev_b64 v[6:7], 3, v[7:8]
	v_add3_u32 v15, v15, v21, v20
	v_add_co_ci_u32_e64 v19, null, 0, v5, vcc_lo
	s_cselect_b32 s21, -1, 0
	s_lshl_b64 s[6:7], s[14:15], 9
	v_add_co_u32 v20, vcc_lo, v6, v9
	v_add_co_ci_u32_e64 v21, null, v7, v10, vcc_lo
	v_mad_u64_u32 v[7:8], null, s14, v28, 0
	v_mov_b32_e32 v6, v17
	v_lshlrev_b64 v[4:5], 3, v[14:15]
	v_mul_lo_u32 v15, s14, v29
	v_mul_lo_u32 v17, s15, v28
	v_mad_u64_u32 v[13:14], null, s15, v27, v[6:7]
	v_add_nc_u32_e32 v14, 0xc0, v3
	v_add_co_u32 v27, vcc_lo, v4, v35
	v_add_co_ci_u32_e64 v28, null, 0, v5, vcc_lo
	v_lshlrev_b64 v[5:6], 3, v[11:12]
	v_ashrrev_i32_e32 v29, 31, v14
	v_add3_u32 v8, v8, v15, v17
	v_mad_u64_u32 v[3:4], null, s14, v31, 0
	v_mul_lo_u32 v32, s15, v14
	v_mul_lo_u32 v15, s14, v29
	v_add_co_u32 v29, vcc_lo, v5, v9
	v_add_co_ci_u32_e64 v30, null, v6, v10, vcc_lo
	v_lshlrev_b64 v[5:6], 3, v[7:8]
	v_mad_u64_u32 v[11:12], null, s14, v14, 0
	v_mov_b32_e32 v17, v13
	v_mad_u64_u32 v[7:8], null, s15, v31, v[4:5]
	v_lshlrev_b64 v[13:14], 3, v[16:17]
	v_add3_u32 v12, v12, v15, v32
	v_add_co_u32 v31, vcc_lo, v5, v35
	v_add_co_ci_u32_e64 v32, null, 0, v6, vcc_lo
	v_mov_b32_e32 v4, v7
	v_lshlrev_b64 v[5:6], 3, v[11:12]
	v_add_co_u32 v33, vcc_lo, v13, v9
	v_add_co_ci_u32_e64 v34, null, v14, v10, vcc_lo
	v_lshlrev_b64 v[3:4], 5, v[3:4]
	v_add_co_u32 v35, vcc_lo, v5, v35
	v_add_co_ci_u32_e64 v36, null, 0, v6, vcc_lo
	v_mov_b32_e32 v5, v2
	v_add_co_u32 v37, vcc_lo, v3, v9
	v_add_co_ci_u32_e64 v38, null, v4, v10, vcc_lo
	v_mov_b32_e32 v3, v2
	v_mov_b32_e32 v4, v2
	;; [unrolled: 1-line block ×6, first 2 shown]
	s_branch .LBB20_4
.LBB20_2:                               ;   in Loop: Header=BB20_4 Depth=1
	v_mov_b32_e32 v2, v10
	v_mov_b32_e32 v3, v11
	v_mov_b32_e32 v4, v12
	v_mov_b32_e32 v5, v13
	v_mov_b32_e32 v6, v14
	v_mov_b32_e32 v7, v15
	v_mov_b32_e32 v8, v16
	v_mov_b32_e32 v9, v17
.LBB20_3:                               ;   in Loop: Header=BB20_4 Depth=1
	s_or_b32 exec_lo, exec_lo, s22
	v_add_co_u32 v1, vcc_lo, 0x200, v1
	v_add_co_ci_u32_e64 v19, null, 0, v19, vcc_lo
	v_add_co_u32 v20, vcc_lo, v20, s6
	v_add_co_ci_u32_e64 v21, null, s7, v21, vcc_lo
	v_add_co_u32 v27, vcc_lo, 0x200, v27
	v_add_co_ci_u32_e64 v28, null, 0, v28, vcc_lo
	v_add_co_u32 v29, vcc_lo, v29, s6
	v_add_co_ci_u32_e64 v30, null, s7, v30, vcc_lo
	v_add_co_u32 v31, vcc_lo, 0x200, v31
	v_add_nc_u32_e32 v0, 64, v0
	v_add_co_ci_u32_e64 v32, null, 0, v32, vcc_lo
	v_add_co_u32 v33, vcc_lo, v33, s6
	v_add_co_ci_u32_e64 v34, null, s7, v34, vcc_lo
	v_add_co_u32 v35, vcc_lo, 0x200, v35
	v_add_co_ci_u32_e64 v36, null, 0, v36, vcc_lo
	v_cmp_le_i32_e32 vcc_lo, s18, v0
	v_add_co_u32 v37, s4, v37, s6
	v_add_co_ci_u32_e64 v38, null, s7, v38, s4
	s_or_b32 s20, vcc_lo, s20
	s_andn2_b32 exec_lo, exec_lo, s20
	s_cbranch_execz .LBB20_27
.LBB20_4:                               ; =>This Inner Loop Header: Depth=1
	s_and_saveexec_b32 s22, s0
	s_cbranch_execnz .LBB20_8
; %bb.5:                                ;   in Loop: Header=BB20_4 Depth=1
	s_or_b32 exec_lo, exec_lo, s22
	s_and_saveexec_b32 s22, s1
	s_cbranch_execnz .LBB20_13
.LBB20_6:                               ;   in Loop: Header=BB20_4 Depth=1
	s_or_b32 exec_lo, exec_lo, s22
	s_and_saveexec_b32 s22, s2
	s_cbranch_execnz .LBB20_18
.LBB20_7:                               ;   in Loop: Header=BB20_4 Depth=1
	s_or_b32 exec_lo, exec_lo, s22
	s_and_saveexec_b32 s22, s3
	s_cbranch_execz .LBB20_3
	s_branch .LBB20_23
.LBB20_8:                               ;   in Loop: Header=BB20_4 Depth=1
	s_andn2_b32 vcc_lo, exec_lo, s21
	s_mov_b32 s4, -1
                                        ; implicit-def: $vgpr10_vgpr11_vgpr12_vgpr13_vgpr14_vgpr15_vgpr16_vgpr17
	s_cbranch_vccnz .LBB20_10
; %bb.9:                                ;   in Loop: Header=BB20_4 Depth=1
	v_add_co_u32 v14, vcc_lo, s12, v1
	v_add_co_ci_u32_e64 v15, null, s13, v19, vcc_lo
	s_clause 0x1
	global_load_dwordx4 v[10:13], v[14:15], off
	global_load_dwordx4 v[14:17], v[14:15], off offset:16
	s_waitcnt vmcnt(1)
	v_cmp_neq_f32_e32 vcc_lo, 0, v10
	v_cmp_neq_f32_e64 s4, 0, v11
	v_add_co_u32 v10, s5, v2, 1
	v_add_co_ci_u32_e64 v11, null, 0, v3, s5
	s_or_b32 vcc_lo, vcc_lo, s4
	v_cmp_neq_f32_e64 s4, 0, v13
	v_cndmask_b32_e32 v10, v2, v10, vcc_lo
	v_cndmask_b32_e32 v11, v3, v11, vcc_lo
	v_cmp_neq_f32_e32 vcc_lo, 0, v12
	v_add_co_u32 v12, s5, v10, 1
	v_add_co_ci_u32_e64 v13, null, 0, v11, s5
	s_or_b32 vcc_lo, vcc_lo, s4
	s_waitcnt vmcnt(0)
	v_cmp_neq_f32_e64 s4, 0, v15
	v_cndmask_b32_e32 v10, v10, v12, vcc_lo
	v_cndmask_b32_e32 v11, v11, v13, vcc_lo
	v_cmp_neq_f32_e32 vcc_lo, 0, v14
	v_mov_b32_e32 v12, v4
	v_mov_b32_e32 v15, v7
	v_add_co_u32 v13, s5, v10, 1
	v_add_co_ci_u32_e64 v14, null, 0, v11, s5
	s_or_b32 vcc_lo, vcc_lo, s4
	v_cmp_neq_f32_e64 s4, 0, v17
	v_cndmask_b32_e32 v10, v10, v13, vcc_lo
	v_cndmask_b32_e32 v11, v11, v14, vcc_lo
	v_cmp_neq_f32_e32 vcc_lo, 0, v16
	v_mov_b32_e32 v13, v5
	v_mov_b32_e32 v14, v6
	v_add_co_u32 v17, s5, v10, 1
	v_add_co_ci_u32_e64 v39, null, 0, v11, s5
	s_or_b32 vcc_lo, vcc_lo, s4
	v_mov_b32_e32 v16, v8
	v_cndmask_b32_e32 v10, v10, v17, vcc_lo
	v_cndmask_b32_e32 v11, v11, v39, vcc_lo
	v_mov_b32_e32 v17, v9
	s_mov_b32 s4, 0
.LBB20_10:                              ;   in Loop: Header=BB20_4 Depth=1
	s_andn2_b32 vcc_lo, exec_lo, s4
	s_cbranch_vccnz .LBB20_12
; %bb.11:                               ;   in Loop: Header=BB20_4 Depth=1
	v_add_co_u32 v10, vcc_lo, s12, v37
	v_add_co_ci_u32_e64 v11, null, s13, v38, vcc_lo
	v_add_co_u32 v12, vcc_lo, s12, v33
	v_add_co_ci_u32_e64 v13, null, s13, v34, vcc_lo
	global_load_dwordx2 v[10:11], v[10:11], off
	v_add_co_u32 v14, vcc_lo, s12, v29
	global_load_dwordx2 v[12:13], v[12:13], off
	v_add_co_ci_u32_e64 v15, null, s13, v30, vcc_lo
	v_add_co_u32 v16, vcc_lo, s12, v20
	v_add_co_ci_u32_e64 v17, null, s13, v21, vcc_lo
	s_clause 0x1
	global_load_dwordx2 v[14:15], v[14:15], off
	global_load_dwordx2 v[16:17], v[16:17], off
	s_waitcnt vmcnt(3)
	v_cmp_neq_f32_e32 vcc_lo, 0, v10
	v_cmp_neq_f32_e64 s4, 0, v11
	v_add_co_u32 v10, s5, v2, 1
	v_add_co_ci_u32_e64 v11, null, 0, v3, s5
	s_or_b32 vcc_lo, vcc_lo, s4
	s_waitcnt vmcnt(2)
	v_cmp_neq_f32_e64 s4, 0, v13
	v_cndmask_b32_e32 v2, v2, v10, vcc_lo
	v_cndmask_b32_e32 v3, v3, v11, vcc_lo
	v_cmp_neq_f32_e32 vcc_lo, 0, v12
	v_add_co_u32 v10, s5, v2, 1
	v_add_co_ci_u32_e64 v11, null, 0, v3, s5
	s_or_b32 vcc_lo, vcc_lo, s4
	s_waitcnt vmcnt(1)
	v_cmp_neq_f32_e64 s4, 0, v15
	v_cndmask_b32_e32 v2, v2, v10, vcc_lo
	v_cndmask_b32_e32 v3, v3, v11, vcc_lo
	v_cmp_neq_f32_e32 vcc_lo, 0, v14
	;; [unrolled: 8-line block ×3, first 2 shown]
	v_add_co_u32 v10, s5, v2, 1
	v_add_co_ci_u32_e64 v11, null, 0, v3, s5
	s_or_b32 vcc_lo, vcc_lo, s4
	v_cndmask_b32_e32 v2, v2, v10, vcc_lo
	v_cndmask_b32_e32 v3, v3, v11, vcc_lo
	v_mov_b32_e32 v17, v9
	v_mov_b32_e32 v16, v8
	;; [unrolled: 1-line block ×8, first 2 shown]
.LBB20_12:                              ;   in Loop: Header=BB20_4 Depth=1
	v_mov_b32_e32 v2, v10
	v_mov_b32_e32 v3, v11
	v_mov_b32_e32 v4, v12
	v_mov_b32_e32 v5, v13
	v_mov_b32_e32 v6, v14
	v_mov_b32_e32 v7, v15
	v_mov_b32_e32 v8, v16
	v_mov_b32_e32 v9, v17
	s_or_b32 exec_lo, exec_lo, s22
	s_and_saveexec_b32 s22, s1
	s_cbranch_execz .LBB20_6
.LBB20_13:                              ;   in Loop: Header=BB20_4 Depth=1
	s_andn2_b32 vcc_lo, exec_lo, s21
	s_mov_b32 s4, -1
                                        ; implicit-def: $vgpr10_vgpr11_vgpr12_vgpr13_vgpr14_vgpr15_vgpr16_vgpr17
	s_cbranch_vccnz .LBB20_15
; %bb.14:                               ;   in Loop: Header=BB20_4 Depth=1
	v_add_co_u32 v14, vcc_lo, s12, v27
	v_add_co_ci_u32_e64 v15, null, s13, v28, vcc_lo
	s_clause 0x1
	global_load_dwordx4 v[10:13], v[14:15], off
	global_load_dwordx4 v[14:17], v[14:15], off offset:16
	s_waitcnt vmcnt(1)
	v_cmp_neq_f32_e32 vcc_lo, 0, v10
	v_cmp_neq_f32_e64 s4, 0, v11
	v_add_co_u32 v10, s5, v4, 1
	v_add_co_ci_u32_e64 v11, null, 0, v5, s5
	s_or_b32 vcc_lo, vcc_lo, s4
	v_cmp_neq_f32_e64 s4, 0, v13
	v_cndmask_b32_e32 v10, v4, v10, vcc_lo
	v_cndmask_b32_e32 v11, v5, v11, vcc_lo
	v_cmp_neq_f32_e32 vcc_lo, 0, v12
	v_add_co_u32 v12, s5, v10, 1
	v_add_co_ci_u32_e64 v13, null, 0, v11, s5
	s_or_b32 vcc_lo, vcc_lo, s4
	s_waitcnt vmcnt(0)
	v_cmp_neq_f32_e64 s4, 0, v15
	v_cndmask_b32_e32 v12, v10, v12, vcc_lo
	v_cndmask_b32_e32 v11, v11, v13, vcc_lo
	v_cmp_neq_f32_e32 vcc_lo, 0, v14
	v_mov_b32_e32 v10, v2
	v_mov_b32_e32 v15, v7
	v_add_co_u32 v13, s5, v12, 1
	v_add_co_ci_u32_e64 v14, null, 0, v11, s5
	s_or_b32 vcc_lo, vcc_lo, s4
	v_cmp_neq_f32_e64 s4, 0, v17
	v_cndmask_b32_e32 v12, v12, v13, vcc_lo
	v_cndmask_b32_e32 v39, v11, v14, vcc_lo
	v_cmp_neq_f32_e32 vcc_lo, 0, v16
	v_mov_b32_e32 v11, v3
	v_mov_b32_e32 v14, v6
	v_add_co_u32 v17, s5, v12, 1
	v_add_co_ci_u32_e64 v13, null, 0, v39, s5
	s_or_b32 vcc_lo, vcc_lo, s4
	v_mov_b32_e32 v16, v8
	v_cndmask_b32_e32 v12, v12, v17, vcc_lo
	v_cndmask_b32_e32 v13, v39, v13, vcc_lo
	v_mov_b32_e32 v17, v9
	s_mov_b32 s4, 0
.LBB20_15:                              ;   in Loop: Header=BB20_4 Depth=1
	s_andn2_b32 vcc_lo, exec_lo, s4
	s_cbranch_vccnz .LBB20_17
; %bb.16:                               ;   in Loop: Header=BB20_4 Depth=1
	v_add_co_u32 v10, vcc_lo, s12, v37
	v_add_co_ci_u32_e64 v11, null, s13, v38, vcc_lo
	v_add_co_u32 v12, vcc_lo, s12, v33
	v_add_co_ci_u32_e64 v13, null, s13, v34, vcc_lo
	global_load_dwordx2 v[10:11], v[10:11], off offset:512
	v_add_co_u32 v14, vcc_lo, s12, v29
	global_load_dwordx2 v[12:13], v[12:13], off offset:512
	v_add_co_ci_u32_e64 v15, null, s13, v30, vcc_lo
	v_add_co_u32 v16, vcc_lo, s12, v20
	v_add_co_ci_u32_e64 v17, null, s13, v21, vcc_lo
	s_clause 0x1
	global_load_dwordx2 v[14:15], v[14:15], off offset:512
	global_load_dwordx2 v[16:17], v[16:17], off offset:512
	s_waitcnt vmcnt(3)
	v_cmp_neq_f32_e32 vcc_lo, 0, v10
	v_cmp_neq_f32_e64 s4, 0, v11
	v_add_co_u32 v10, s5, v4, 1
	v_add_co_ci_u32_e64 v11, null, 0, v5, s5
	s_or_b32 vcc_lo, vcc_lo, s4
	s_waitcnt vmcnt(2)
	v_cmp_neq_f32_e64 s4, 0, v13
	v_cndmask_b32_e32 v4, v4, v10, vcc_lo
	v_cndmask_b32_e32 v5, v5, v11, vcc_lo
	v_cmp_neq_f32_e32 vcc_lo, 0, v12
	v_add_co_u32 v10, s5, v4, 1
	v_add_co_ci_u32_e64 v11, null, 0, v5, s5
	s_or_b32 vcc_lo, vcc_lo, s4
	s_waitcnt vmcnt(1)
	v_cmp_neq_f32_e64 s4, 0, v15
	v_cndmask_b32_e32 v4, v4, v10, vcc_lo
	v_cndmask_b32_e32 v5, v5, v11, vcc_lo
	v_cmp_neq_f32_e32 vcc_lo, 0, v14
	;; [unrolled: 8-line block ×3, first 2 shown]
	v_add_co_u32 v10, s5, v4, 1
	v_add_co_ci_u32_e64 v11, null, 0, v5, s5
	s_or_b32 vcc_lo, vcc_lo, s4
	v_cndmask_b32_e32 v4, v4, v10, vcc_lo
	v_cndmask_b32_e32 v5, v5, v11, vcc_lo
	v_mov_b32_e32 v17, v9
	v_mov_b32_e32 v16, v8
	;; [unrolled: 1-line block ×8, first 2 shown]
.LBB20_17:                              ;   in Loop: Header=BB20_4 Depth=1
	v_mov_b32_e32 v2, v10
	v_mov_b32_e32 v3, v11
	;; [unrolled: 1-line block ×8, first 2 shown]
	s_or_b32 exec_lo, exec_lo, s22
	s_and_saveexec_b32 s22, s2
	s_cbranch_execz .LBB20_7
.LBB20_18:                              ;   in Loop: Header=BB20_4 Depth=1
	s_andn2_b32 vcc_lo, exec_lo, s21
	s_mov_b32 s4, -1
                                        ; implicit-def: $vgpr10_vgpr11_vgpr12_vgpr13_vgpr14_vgpr15_vgpr16_vgpr17
	s_cbranch_vccnz .LBB20_20
; %bb.19:                               ;   in Loop: Header=BB20_4 Depth=1
	v_add_co_u32 v14, vcc_lo, s12, v31
	v_add_co_ci_u32_e64 v15, null, s13, v32, vcc_lo
	s_clause 0x1
	global_load_dwordx4 v[10:13], v[14:15], off
	global_load_dwordx4 v[14:17], v[14:15], off offset:16
	s_waitcnt vmcnt(1)
	v_cmp_neq_f32_e32 vcc_lo, 0, v10
	v_cmp_neq_f32_e64 s4, 0, v11
	v_add_co_u32 v10, s5, v6, 1
	v_add_co_ci_u32_e64 v11, null, 0, v7, s5
	s_or_b32 vcc_lo, vcc_lo, s4
	v_cmp_neq_f32_e64 s4, 0, v13
	v_cndmask_b32_e32 v10, v6, v10, vcc_lo
	v_cndmask_b32_e32 v11, v7, v11, vcc_lo
	v_cmp_neq_f32_e32 vcc_lo, 0, v12
	v_add_co_u32 v12, s5, v10, 1
	v_add_co_ci_u32_e64 v13, null, 0, v11, s5
	s_or_b32 vcc_lo, vcc_lo, s4
	s_waitcnt vmcnt(0)
	v_cmp_neq_f32_e64 s4, 0, v15
	v_cndmask_b32_e32 v12, v10, v12, vcc_lo
	v_cndmask_b32_e32 v11, v11, v13, vcc_lo
	v_cmp_neq_f32_e32 vcc_lo, 0, v14
	v_mov_b32_e32 v10, v2
	v_add_co_u32 v13, s5, v12, 1
	v_add_co_ci_u32_e64 v14, null, 0, v11, s5
	s_or_b32 vcc_lo, vcc_lo, s4
	v_cmp_neq_f32_e64 s4, 0, v17
	v_cndmask_b32_e32 v39, v12, v13, vcc_lo
	v_cndmask_b32_e32 v14, v11, v14, vcc_lo
	v_cmp_neq_f32_e32 vcc_lo, 0, v16
	v_mov_b32_e32 v11, v3
	v_mov_b32_e32 v12, v4
	v_add_co_u32 v17, s5, v39, 1
	v_add_co_ci_u32_e64 v15, null, 0, v14, s5
	s_or_b32 vcc_lo, vcc_lo, s4
	v_mov_b32_e32 v13, v5
	v_mov_b32_e32 v16, v8
	v_cndmask_b32_e32 v15, v14, v15, vcc_lo
	v_cndmask_b32_e32 v14, v39, v17, vcc_lo
	v_mov_b32_e32 v17, v9
	s_mov_b32 s4, 0
.LBB20_20:                              ;   in Loop: Header=BB20_4 Depth=1
	s_andn2_b32 vcc_lo, exec_lo, s4
	s_cbranch_vccnz .LBB20_22
; %bb.21:                               ;   in Loop: Header=BB20_4 Depth=1
	v_add_co_u32 v10, vcc_lo, s12, v37
	v_add_co_ci_u32_e64 v11, null, s13, v38, vcc_lo
	v_add_co_u32 v12, vcc_lo, s12, v33
	v_add_co_ci_u32_e64 v13, null, s13, v34, vcc_lo
	global_load_dwordx2 v[10:11], v[10:11], off offset:1024
	v_add_co_u32 v14, vcc_lo, s12, v29
	global_load_dwordx2 v[12:13], v[12:13], off offset:1024
	v_add_co_ci_u32_e64 v15, null, s13, v30, vcc_lo
	v_add_co_u32 v16, vcc_lo, s12, v20
	v_add_co_ci_u32_e64 v17, null, s13, v21, vcc_lo
	s_clause 0x1
	global_load_dwordx2 v[14:15], v[14:15], off offset:1024
	global_load_dwordx2 v[16:17], v[16:17], off offset:1024
	s_waitcnt vmcnt(3)
	v_cmp_neq_f32_e32 vcc_lo, 0, v10
	v_cmp_neq_f32_e64 s4, 0, v11
	v_add_co_u32 v10, s5, v6, 1
	v_add_co_ci_u32_e64 v11, null, 0, v7, s5
	s_or_b32 vcc_lo, vcc_lo, s4
	s_waitcnt vmcnt(2)
	v_cmp_neq_f32_e64 s4, 0, v13
	v_cndmask_b32_e32 v6, v6, v10, vcc_lo
	v_cndmask_b32_e32 v7, v7, v11, vcc_lo
	v_cmp_neq_f32_e32 vcc_lo, 0, v12
	v_add_co_u32 v10, s5, v6, 1
	v_add_co_ci_u32_e64 v11, null, 0, v7, s5
	s_or_b32 vcc_lo, vcc_lo, s4
	s_waitcnt vmcnt(1)
	v_cmp_neq_f32_e64 s4, 0, v15
	v_cndmask_b32_e32 v6, v6, v10, vcc_lo
	v_cndmask_b32_e32 v7, v7, v11, vcc_lo
	v_cmp_neq_f32_e32 vcc_lo, 0, v14
	;; [unrolled: 8-line block ×3, first 2 shown]
	v_add_co_u32 v10, s5, v6, 1
	v_add_co_ci_u32_e64 v11, null, 0, v7, s5
	s_or_b32 vcc_lo, vcc_lo, s4
	v_cndmask_b32_e32 v6, v6, v10, vcc_lo
	v_cndmask_b32_e32 v7, v7, v11, vcc_lo
	v_mov_b32_e32 v17, v9
	v_mov_b32_e32 v16, v8
	;; [unrolled: 1-line block ×8, first 2 shown]
.LBB20_22:                              ;   in Loop: Header=BB20_4 Depth=1
	v_mov_b32_e32 v2, v10
	v_mov_b32_e32 v3, v11
	;; [unrolled: 1-line block ×8, first 2 shown]
	s_or_b32 exec_lo, exec_lo, s22
	s_and_saveexec_b32 s22, s3
	s_cbranch_execz .LBB20_3
.LBB20_23:                              ;   in Loop: Header=BB20_4 Depth=1
	s_andn2_b32 vcc_lo, exec_lo, s21
	s_mov_b32 s4, -1
                                        ; implicit-def: $vgpr10_vgpr11_vgpr12_vgpr13_vgpr14_vgpr15_vgpr16_vgpr17
	s_cbranch_vccnz .LBB20_25
; %bb.24:                               ;   in Loop: Header=BB20_4 Depth=1
	v_add_co_u32 v14, vcc_lo, s12, v35
	v_add_co_ci_u32_e64 v15, null, s13, v36, vcc_lo
	s_clause 0x1
	global_load_dwordx4 v[10:13], v[14:15], off
	global_load_dwordx4 v[14:17], v[14:15], off offset:16
	s_waitcnt vmcnt(1)
	v_cmp_neq_f32_e32 vcc_lo, 0, v10
	v_cmp_neq_f32_e64 s4, 0, v11
	v_add_co_u32 v10, s5, v8, 1
	v_add_co_ci_u32_e64 v11, null, 0, v9, s5
	s_or_b32 vcc_lo, vcc_lo, s4
	v_cmp_neq_f32_e64 s4, 0, v13
	v_cndmask_b32_e32 v10, v8, v10, vcc_lo
	v_cndmask_b32_e32 v11, v9, v11, vcc_lo
	v_cmp_neq_f32_e32 vcc_lo, 0, v12
	v_add_co_u32 v12, s5, v10, 1
	v_add_co_ci_u32_e64 v13, null, 0, v11, s5
	s_or_b32 vcc_lo, vcc_lo, s4
	s_waitcnt vmcnt(0)
	v_cmp_neq_f32_e64 s4, 0, v15
	v_cndmask_b32_e32 v12, v10, v12, vcc_lo
	v_cndmask_b32_e32 v11, v11, v13, vcc_lo
	v_cmp_neq_f32_e32 vcc_lo, 0, v14
	v_mov_b32_e32 v10, v2
	v_add_co_u32 v13, s5, v12, 1
	v_add_co_ci_u32_e64 v14, null, 0, v11, s5
	s_or_b32 vcc_lo, vcc_lo, s4
	v_cmp_neq_f32_e64 s4, 0, v17
	v_cndmask_b32_e32 v39, v12, v13, vcc_lo
	v_cndmask_b32_e32 v15, v11, v14, vcc_lo
	v_cmp_neq_f32_e32 vcc_lo, 0, v16
	v_mov_b32_e32 v11, v3
	v_mov_b32_e32 v12, v4
	v_add_co_u32 v16, s5, v39, 1
	v_add_co_ci_u32_e64 v17, null, 0, v15, s5
	s_or_b32 vcc_lo, vcc_lo, s4
	v_mov_b32_e32 v13, v5
	v_mov_b32_e32 v14, v6
	v_cndmask_b32_e32 v17, v15, v17, vcc_lo
	v_cndmask_b32_e32 v16, v39, v16, vcc_lo
	v_mov_b32_e32 v15, v7
	s_mov_b32 s4, 0
.LBB20_25:                              ;   in Loop: Header=BB20_4 Depth=1
	s_andn2_b32 vcc_lo, exec_lo, s4
	s_cbranch_vccnz .LBB20_2
; %bb.26:                               ;   in Loop: Header=BB20_4 Depth=1
	v_add_co_u32 v10, vcc_lo, s12, v37
	v_add_co_ci_u32_e64 v11, null, s13, v38, vcc_lo
	v_add_co_u32 v12, vcc_lo, s12, v33
	v_add_co_ci_u32_e64 v13, null, s13, v34, vcc_lo
	global_load_dwordx2 v[10:11], v[10:11], off offset:1536
	v_add_co_u32 v14, vcc_lo, s12, v29
	global_load_dwordx2 v[12:13], v[12:13], off offset:1536
	v_add_co_ci_u32_e64 v15, null, s13, v30, vcc_lo
	v_add_co_u32 v16, vcc_lo, s12, v20
	v_add_co_ci_u32_e64 v17, null, s13, v21, vcc_lo
	s_clause 0x1
	global_load_dwordx2 v[14:15], v[14:15], off offset:1536
	global_load_dwordx2 v[16:17], v[16:17], off offset:1536
	s_waitcnt vmcnt(3)
	v_cmp_neq_f32_e32 vcc_lo, 0, v10
	v_cmp_neq_f32_e64 s4, 0, v11
	v_add_co_u32 v10, s5, v8, 1
	v_add_co_ci_u32_e64 v11, null, 0, v9, s5
	s_or_b32 vcc_lo, vcc_lo, s4
	s_waitcnt vmcnt(2)
	v_cmp_neq_f32_e64 s4, 0, v13
	v_cndmask_b32_e32 v8, v8, v10, vcc_lo
	v_cndmask_b32_e32 v9, v9, v11, vcc_lo
	v_cmp_neq_f32_e32 vcc_lo, 0, v12
	v_add_co_u32 v10, s5, v8, 1
	v_add_co_ci_u32_e64 v11, null, 0, v9, s5
	s_or_b32 vcc_lo, vcc_lo, s4
	s_waitcnt vmcnt(1)
	v_cmp_neq_f32_e64 s4, 0, v15
	v_cndmask_b32_e32 v8, v8, v10, vcc_lo
	v_cndmask_b32_e32 v9, v9, v11, vcc_lo
	v_cmp_neq_f32_e32 vcc_lo, 0, v14
	;; [unrolled: 8-line block ×3, first 2 shown]
	v_add_co_u32 v10, s5, v8, 1
	v_add_co_ci_u32_e64 v11, null, 0, v9, s5
	s_or_b32 vcc_lo, vcc_lo, s4
	v_cndmask_b32_e32 v8, v8, v10, vcc_lo
	v_cndmask_b32_e32 v9, v9, v11, vcc_lo
	v_mov_b32_e32 v17, v9
	v_mov_b32_e32 v16, v8
	;; [unrolled: 1-line block ×8, first 2 shown]
	s_branch .LBB20_2
.LBB20_27:
	s_or_b32 exec_lo, exec_lo, s20
.LBB20_28:
	s_or_b32 exec_lo, exec_lo, s19
	s_sub_i32 s0, s10, s18
	s_cmp_lt_i32 s0, 1
	s_cbranch_scc1 .LBB20_126
; %bb.29:
	v_mov_b32_e32 v1, 0
	s_cmp_eq_u32 s8, 1
	v_ashrrev_i32_e32 v19, 31, v18
	s_cselect_b32 s2, -1, 0
	s_cmp_lg_u32 s8, 1
	v_lshlrev_b64 v[10:11], 3, v[0:1]
	s_cselect_b32 s1, -1, 0
	s_mov_b32 s3, exec_lo
	v_add_co_u32 v1, s0, s12, v10
	v_add_co_ci_u32_e64 v27, null, s13, v11, s0
	v_cmpx_gt_i32_e64 s9, v18
	s_cbranch_execnz .LBB20_33
; %bb.30:
	s_or_b32 exec_lo, exec_lo, s3
	s_mov_b32 s3, exec_lo
	v_cmpx_gt_i32_e64 s9, v26
	s_cbranch_execnz .LBB20_56
.LBB20_31:
	s_or_b32 exec_lo, exec_lo, s3
	s_mov_b32 s3, exec_lo
	v_cmpx_gt_i32_e64 s9, v25
	s_cbranch_execnz .LBB20_79
.LBB20_32:
	s_or_b32 exec_lo, exec_lo, s3
	s_mov_b32 s3, exec_lo
	v_cmpx_gt_i32_e64 s9, v24
	s_cbranch_execnz .LBB20_102
	s_branch .LBB20_125
.LBB20_33:
	v_mul_lo_u32 v12, s15, v18
	v_mul_lo_u32 v13, s14, v19
	v_mad_u64_u32 v[10:11], null, s14, v18, 0
	s_mov_b32 s4, exec_lo
	v_add3_u32 v11, v11, v13, v12
	v_lshlrev_b64 v[12:13], 3, v[18:19]
	v_lshlrev_b64 v[10:11], 3, v[10:11]
	v_add_co_u32 v28, vcc_lo, s12, v12
	v_add_co_ci_u32_e64 v29, null, s13, v13, vcc_lo
	v_add_co_u32 v20, vcc_lo, v1, v10
	v_add_co_ci_u32_e64 v21, null, v27, v11, vcc_lo
	v_cmpx_gt_i32_e64 s10, v0
	s_cbranch_execz .LBB20_37
; %bb.34:
	v_mov_b32_e32 v10, v20
	v_mov_b32_e32 v11, v21
	s_andn2_b32 vcc_lo, exec_lo, s2
	s_cbranch_vccnz .LBB20_36
; %bb.35:
	v_mad_u64_u32 v[10:11], null, s14, v0, 0
	v_mad_u64_u32 v[11:12], null, s15, v0, v[11:12]
	v_lshlrev_b64 v[10:11], 3, v[10:11]
	v_add_co_u32 v10, vcc_lo, v28, v10
	v_add_co_ci_u32_e64 v11, null, v29, v11, vcc_lo
.LBB20_36:
	global_load_dwordx2 v[10:11], v[10:11], off
	s_waitcnt vmcnt(0)
	v_cmp_neq_f32_e32 vcc_lo, 0, v10
	v_cmp_neq_f32_e64 s0, 0, v11
	s_or_b32 s0, vcc_lo, s0
	v_cndmask_b32_e64 v10, 0, 1, s0
	v_add_co_u32 v2, vcc_lo, v2, v10
	v_add_co_ci_u32_e64 v3, null, 0, v3, vcc_lo
.LBB20_37:
	s_or_b32 exec_lo, exec_lo, s4
	v_or_b32_e32 v30, 1, v0
	s_mov_b32 s4, exec_lo
	v_cmpx_gt_i32_e64 s10, v30
	s_cbranch_execz .LBB20_43
; %bb.38:
	s_andn2_b32 vcc_lo, exec_lo, s1
	s_cbranch_vccnz .LBB20_40
; %bb.39:
	global_load_dwordx2 v[10:11], v[20:21], off offset:8
	s_waitcnt vmcnt(0)
	v_cmp_neq_f32_e32 vcc_lo, 0, v10
	v_cmp_neq_f32_e64 s0, 0, v11
	s_or_b32 s0, vcc_lo, s0
	v_cndmask_b32_e64 v10, 0, 1, s0
	v_add_co_u32 v31, vcc_lo, v2, v10
	v_add_co_ci_u32_e64 v32, null, 0, v3, vcc_lo
	v_mov_b32_e32 v17, v9
	v_mov_b32_e32 v11, v3
	v_mov_b32_e32 v10, v2
	v_mov_b32_e32 v16, v8
	v_mov_b32_e32 v15, v7
	v_mov_b32_e32 v14, v6
	v_mov_b32_e32 v13, v5
	v_mov_b32_e32 v12, v4
	v_mov_b32_e32 v10, v31
	v_mov_b32_e32 v11, v32
	s_cbranch_execz .LBB20_41
	s_branch .LBB20_42
.LBB20_40:
                                        ; implicit-def: $vgpr10_vgpr11_vgpr12_vgpr13_vgpr14_vgpr15_vgpr16_vgpr17
.LBB20_41:
	v_mad_u64_u32 v[10:11], null, s14, v30, 0
	v_mad_u64_u32 v[11:12], null, s15, v30, v[11:12]
	v_lshlrev_b64 v[10:11], 3, v[10:11]
	v_add_co_u32 v10, vcc_lo, v28, v10
	v_add_co_ci_u32_e64 v11, null, v29, v11, vcc_lo
	global_load_dwordx2 v[10:11], v[10:11], off
	s_waitcnt vmcnt(0)
	v_cmp_neq_f32_e32 vcc_lo, 0, v10
	v_cmp_neq_f32_e64 s0, 0, v11
	s_or_b32 s0, vcc_lo, s0
	v_cndmask_b32_e64 v10, 0, 1, s0
	v_add_co_u32 v2, vcc_lo, v2, v10
	v_add_co_ci_u32_e64 v3, null, 0, v3, vcc_lo
	v_mov_b32_e32 v17, v9
	v_mov_b32_e32 v16, v8
	v_mov_b32_e32 v15, v7
	v_mov_b32_e32 v14, v6
	v_mov_b32_e32 v13, v5
	v_mov_b32_e32 v12, v4
	v_mov_b32_e32 v11, v3
	v_mov_b32_e32 v10, v2
.LBB20_42:
	v_mov_b32_e32 v2, v10
	v_mov_b32_e32 v3, v11
	v_mov_b32_e32 v4, v12
	v_mov_b32_e32 v5, v13
	v_mov_b32_e32 v6, v14
	v_mov_b32_e32 v7, v15
	v_mov_b32_e32 v8, v16
	v_mov_b32_e32 v9, v17
.LBB20_43:
	s_or_b32 exec_lo, exec_lo, s4
	v_or_b32_e32 v30, 2, v0
	s_mov_b32 s4, exec_lo
	v_cmpx_gt_i32_e64 s10, v30
	s_cbranch_execz .LBB20_49
; %bb.44:
	s_andn2_b32 vcc_lo, exec_lo, s1
	s_cbranch_vccnz .LBB20_46
; %bb.45:
	global_load_dwordx2 v[10:11], v[20:21], off offset:16
	s_waitcnt vmcnt(0)
	v_cmp_neq_f32_e32 vcc_lo, 0, v10
	v_cmp_neq_f32_e64 s0, 0, v11
	s_or_b32 s0, vcc_lo, s0
	v_cndmask_b32_e64 v10, 0, 1, s0
	v_add_co_u32 v31, vcc_lo, v2, v10
	v_add_co_ci_u32_e64 v32, null, 0, v3, vcc_lo
	v_mov_b32_e32 v17, v9
	v_mov_b32_e32 v11, v3
	v_mov_b32_e32 v10, v2
	v_mov_b32_e32 v16, v8
	v_mov_b32_e32 v15, v7
	v_mov_b32_e32 v14, v6
	v_mov_b32_e32 v13, v5
	v_mov_b32_e32 v12, v4
	v_mov_b32_e32 v10, v31
	v_mov_b32_e32 v11, v32
	s_cbranch_execz .LBB20_47
	s_branch .LBB20_48
.LBB20_46:
                                        ; implicit-def: $vgpr10_vgpr11_vgpr12_vgpr13_vgpr14_vgpr15_vgpr16_vgpr17
.LBB20_47:
	v_mad_u64_u32 v[10:11], null, s14, v30, 0
	v_mad_u64_u32 v[11:12], null, s15, v30, v[11:12]
	v_lshlrev_b64 v[10:11], 3, v[10:11]
	v_add_co_u32 v10, vcc_lo, v28, v10
	v_add_co_ci_u32_e64 v11, null, v29, v11, vcc_lo
	global_load_dwordx2 v[10:11], v[10:11], off
	s_waitcnt vmcnt(0)
	v_cmp_neq_f32_e32 vcc_lo, 0, v10
	v_cmp_neq_f32_e64 s0, 0, v11
	s_or_b32 s0, vcc_lo, s0
	v_cndmask_b32_e64 v10, 0, 1, s0
	v_add_co_u32 v2, vcc_lo, v2, v10
	v_add_co_ci_u32_e64 v3, null, 0, v3, vcc_lo
	v_mov_b32_e32 v17, v9
	v_mov_b32_e32 v16, v8
	v_mov_b32_e32 v15, v7
	v_mov_b32_e32 v14, v6
	v_mov_b32_e32 v13, v5
	v_mov_b32_e32 v12, v4
	v_mov_b32_e32 v11, v3
	v_mov_b32_e32 v10, v2
.LBB20_48:
	v_mov_b32_e32 v2, v10
	v_mov_b32_e32 v3, v11
	v_mov_b32_e32 v4, v12
	v_mov_b32_e32 v5, v13
	v_mov_b32_e32 v6, v14
	v_mov_b32_e32 v7, v15
	v_mov_b32_e32 v8, v16
	v_mov_b32_e32 v9, v17
.LBB20_49:
	s_or_b32 exec_lo, exec_lo, s4
	v_or_b32_e32 v30, 3, v0
	s_mov_b32 s4, exec_lo
	v_cmpx_gt_i32_e64 s10, v30
	s_cbranch_execz .LBB20_55
; %bb.50:
	s_andn2_b32 vcc_lo, exec_lo, s1
	s_cbranch_vccnz .LBB20_52
; %bb.51:
	global_load_dwordx2 v[10:11], v[20:21], off offset:24
	s_waitcnt vmcnt(0)
	v_cmp_neq_f32_e32 vcc_lo, 0, v10
	v_cmp_neq_f32_e64 s0, 0, v11
	s_or_b32 s0, vcc_lo, s0
	v_cndmask_b32_e64 v10, 0, 1, s0
	v_add_co_u32 v20, vcc_lo, v2, v10
	v_add_co_ci_u32_e64 v21, null, 0, v3, vcc_lo
	v_mov_b32_e32 v17, v9
	v_mov_b32_e32 v11, v3
	v_mov_b32_e32 v10, v2
	v_mov_b32_e32 v16, v8
	v_mov_b32_e32 v15, v7
	v_mov_b32_e32 v14, v6
	v_mov_b32_e32 v13, v5
	v_mov_b32_e32 v12, v4
	v_mov_b32_e32 v10, v20
	v_mov_b32_e32 v11, v21
	s_cbranch_execz .LBB20_53
	s_branch .LBB20_54
.LBB20_52:
                                        ; implicit-def: $vgpr10_vgpr11_vgpr12_vgpr13_vgpr14_vgpr15_vgpr16_vgpr17
.LBB20_53:
	v_mad_u64_u32 v[10:11], null, s14, v30, 0
	v_mad_u64_u32 v[11:12], null, s15, v30, v[11:12]
	v_lshlrev_b64 v[10:11], 3, v[10:11]
	v_add_co_u32 v10, vcc_lo, v28, v10
	v_add_co_ci_u32_e64 v11, null, v29, v11, vcc_lo
	global_load_dwordx2 v[10:11], v[10:11], off
	s_waitcnt vmcnt(0)
	v_cmp_neq_f32_e32 vcc_lo, 0, v10
	v_cmp_neq_f32_e64 s0, 0, v11
	s_or_b32 s0, vcc_lo, s0
	v_cndmask_b32_e64 v10, 0, 1, s0
	v_add_co_u32 v2, vcc_lo, v2, v10
	v_add_co_ci_u32_e64 v3, null, 0, v3, vcc_lo
	v_mov_b32_e32 v17, v9
	v_mov_b32_e32 v16, v8
	v_mov_b32_e32 v15, v7
	v_mov_b32_e32 v14, v6
	v_mov_b32_e32 v13, v5
	v_mov_b32_e32 v12, v4
	v_mov_b32_e32 v11, v3
	v_mov_b32_e32 v10, v2
.LBB20_54:
	v_mov_b32_e32 v2, v10
	v_mov_b32_e32 v3, v11
	v_mov_b32_e32 v4, v12
	v_mov_b32_e32 v5, v13
	v_mov_b32_e32 v6, v14
	v_mov_b32_e32 v7, v15
	v_mov_b32_e32 v8, v16
	v_mov_b32_e32 v9, v17
.LBB20_55:
	s_or_b32 exec_lo, exec_lo, s4
	s_or_b32 exec_lo, exec_lo, s3
	s_mov_b32 s3, exec_lo
	v_cmpx_gt_i32_e64 s9, v26
	s_cbranch_execz .LBB20_31
.LBB20_56:
	v_ashrrev_i32_e32 v12, 31, v26
	v_mul_lo_u32 v13, s15, v26
	v_mad_u64_u32 v[10:11], null, s14, v26, 0
	s_mov_b32 s4, exec_lo
	v_mul_lo_u32 v12, s14, v12
	v_add3_u32 v11, v11, v12, v13
	v_lshlrev_b64 v[12:13], 3, v[18:19]
	v_lshlrev_b64 v[10:11], 3, v[10:11]
	v_add_co_u32 v26, vcc_lo, s12, v12
	v_add_co_ci_u32_e64 v28, null, s13, v13, vcc_lo
	v_add_co_u32 v20, vcc_lo, v1, v10
	v_add_co_ci_u32_e64 v21, null, v27, v11, vcc_lo
	v_cmpx_gt_i32_e64 s10, v0
	s_cbranch_execz .LBB20_60
; %bb.57:
	v_mov_b32_e32 v10, v20
	v_mov_b32_e32 v11, v21
	s_andn2_b32 vcc_lo, exec_lo, s2
	s_cbranch_vccnz .LBB20_59
; %bb.58:
	v_mad_u64_u32 v[10:11], null, s14, v0, 0
	v_mad_u64_u32 v[11:12], null, s15, v0, v[11:12]
	v_lshlrev_b64 v[10:11], 3, v[10:11]
	v_add_co_u32 v10, vcc_lo, v26, v10
	v_add_co_ci_u32_e64 v11, null, v28, v11, vcc_lo
	v_add_co_u32 v10, vcc_lo, 0x200, v10
	v_add_co_ci_u32_e64 v11, null, 0, v11, vcc_lo
.LBB20_59:
	global_load_dwordx2 v[10:11], v[10:11], off
	s_waitcnt vmcnt(0)
	v_cmp_neq_f32_e32 vcc_lo, 0, v10
	v_cmp_neq_f32_e64 s0, 0, v11
	s_or_b32 s0, vcc_lo, s0
	v_cndmask_b32_e64 v10, 0, 1, s0
	v_add_co_u32 v4, vcc_lo, v4, v10
	v_add_co_ci_u32_e64 v5, null, 0, v5, vcc_lo
.LBB20_60:
	s_or_b32 exec_lo, exec_lo, s4
	v_or_b32_e32 v29, 1, v0
	s_mov_b32 s4, exec_lo
	v_cmpx_gt_i32_e64 s10, v29
	s_cbranch_execz .LBB20_66
; %bb.61:
	s_andn2_b32 vcc_lo, exec_lo, s1
	s_cbranch_vccnz .LBB20_63
; %bb.62:
	global_load_dwordx2 v[10:11], v[20:21], off offset:8
	s_waitcnt vmcnt(0)
	v_cmp_neq_f32_e32 vcc_lo, 0, v10
	v_cmp_neq_f32_e64 s0, 0, v11
	s_or_b32 s0, vcc_lo, s0
	v_cndmask_b32_e64 v10, 0, 1, s0
	v_add_co_u32 v30, vcc_lo, v4, v10
	v_add_co_ci_u32_e64 v31, null, 0, v5, vcc_lo
	v_mov_b32_e32 v17, v9
	v_mov_b32_e32 v13, v5
	v_mov_b32_e32 v12, v4
	v_mov_b32_e32 v16, v8
	v_mov_b32_e32 v15, v7
	v_mov_b32_e32 v14, v6
	v_mov_b32_e32 v11, v3
	v_mov_b32_e32 v10, v2
	v_mov_b32_e32 v12, v30
	v_mov_b32_e32 v13, v31
	s_cbranch_execz .LBB20_64
	s_branch .LBB20_65
.LBB20_63:
                                        ; implicit-def: $vgpr10_vgpr11_vgpr12_vgpr13_vgpr14_vgpr15_vgpr16_vgpr17
.LBB20_64:
	v_mad_u64_u32 v[10:11], null, s14, v29, 0
	v_mad_u64_u32 v[11:12], null, s15, v29, v[11:12]
	v_lshlrev_b64 v[10:11], 3, v[10:11]
	v_add_co_u32 v10, vcc_lo, v26, v10
	v_add_co_ci_u32_e64 v11, null, v28, v11, vcc_lo
	global_load_dwordx2 v[10:11], v[10:11], off offset:512
	s_waitcnt vmcnt(0)
	v_cmp_neq_f32_e32 vcc_lo, 0, v10
	v_cmp_neq_f32_e64 s0, 0, v11
	s_or_b32 s0, vcc_lo, s0
	v_cndmask_b32_e64 v10, 0, 1, s0
	v_add_co_u32 v4, vcc_lo, v4, v10
	v_add_co_ci_u32_e64 v5, null, 0, v5, vcc_lo
	v_mov_b32_e32 v17, v9
	v_mov_b32_e32 v16, v8
	v_mov_b32_e32 v15, v7
	v_mov_b32_e32 v14, v6
	v_mov_b32_e32 v13, v5
	v_mov_b32_e32 v12, v4
	v_mov_b32_e32 v11, v3
	v_mov_b32_e32 v10, v2
.LBB20_65:
	v_mov_b32_e32 v2, v10
	v_mov_b32_e32 v3, v11
	v_mov_b32_e32 v4, v12
	v_mov_b32_e32 v5, v13
	v_mov_b32_e32 v6, v14
	v_mov_b32_e32 v7, v15
	v_mov_b32_e32 v8, v16
	v_mov_b32_e32 v9, v17
.LBB20_66:
	s_or_b32 exec_lo, exec_lo, s4
	v_or_b32_e32 v29, 2, v0
	s_mov_b32 s4, exec_lo
	v_cmpx_gt_i32_e64 s10, v29
	s_cbranch_execz .LBB20_72
; %bb.67:
	s_andn2_b32 vcc_lo, exec_lo, s1
	s_cbranch_vccnz .LBB20_69
; %bb.68:
	global_load_dwordx2 v[10:11], v[20:21], off offset:16
	s_waitcnt vmcnt(0)
	v_cmp_neq_f32_e32 vcc_lo, 0, v10
	v_cmp_neq_f32_e64 s0, 0, v11
	s_or_b32 s0, vcc_lo, s0
	v_cndmask_b32_e64 v10, 0, 1, s0
	v_add_co_u32 v30, vcc_lo, v4, v10
	v_add_co_ci_u32_e64 v31, null, 0, v5, vcc_lo
	v_mov_b32_e32 v17, v9
	v_mov_b32_e32 v13, v5
	v_mov_b32_e32 v12, v4
	v_mov_b32_e32 v16, v8
	v_mov_b32_e32 v15, v7
	v_mov_b32_e32 v14, v6
	v_mov_b32_e32 v11, v3
	v_mov_b32_e32 v10, v2
	v_mov_b32_e32 v12, v30
	v_mov_b32_e32 v13, v31
	s_cbranch_execz .LBB20_70
	s_branch .LBB20_71
.LBB20_69:
                                        ; implicit-def: $vgpr10_vgpr11_vgpr12_vgpr13_vgpr14_vgpr15_vgpr16_vgpr17
.LBB20_70:
	v_mad_u64_u32 v[10:11], null, s14, v29, 0
	v_mad_u64_u32 v[11:12], null, s15, v29, v[11:12]
	v_lshlrev_b64 v[10:11], 3, v[10:11]
	v_add_co_u32 v10, vcc_lo, v26, v10
	v_add_co_ci_u32_e64 v11, null, v28, v11, vcc_lo
	global_load_dwordx2 v[10:11], v[10:11], off offset:512
	s_waitcnt vmcnt(0)
	v_cmp_neq_f32_e32 vcc_lo, 0, v10
	v_cmp_neq_f32_e64 s0, 0, v11
	s_or_b32 s0, vcc_lo, s0
	v_cndmask_b32_e64 v10, 0, 1, s0
	v_add_co_u32 v4, vcc_lo, v4, v10
	v_add_co_ci_u32_e64 v5, null, 0, v5, vcc_lo
	v_mov_b32_e32 v17, v9
	v_mov_b32_e32 v16, v8
	v_mov_b32_e32 v15, v7
	v_mov_b32_e32 v14, v6
	v_mov_b32_e32 v13, v5
	v_mov_b32_e32 v12, v4
	v_mov_b32_e32 v11, v3
	v_mov_b32_e32 v10, v2
.LBB20_71:
	v_mov_b32_e32 v2, v10
	v_mov_b32_e32 v3, v11
	v_mov_b32_e32 v4, v12
	v_mov_b32_e32 v5, v13
	v_mov_b32_e32 v6, v14
	v_mov_b32_e32 v7, v15
	v_mov_b32_e32 v8, v16
	v_mov_b32_e32 v9, v17
.LBB20_72:
	;; [unrolled: 63-line block ×3, first 2 shown]
	s_or_b32 exec_lo, exec_lo, s4
	s_or_b32 exec_lo, exec_lo, s3
	s_mov_b32 s3, exec_lo
	v_cmpx_gt_i32_e64 s9, v25
	s_cbranch_execz .LBB20_32
.LBB20_79:
	v_ashrrev_i32_e32 v12, 31, v25
	v_mul_lo_u32 v13, s15, v25
	v_mad_u64_u32 v[10:11], null, s14, v25, 0
	s_mov_b32 s4, exec_lo
	v_mul_lo_u32 v12, s14, v12
	v_add3_u32 v11, v11, v12, v13
	v_lshlrev_b64 v[12:13], 3, v[18:19]
	v_lshlrev_b64 v[10:11], 3, v[10:11]
	v_add_co_u32 v25, vcc_lo, s12, v12
	v_add_co_ci_u32_e64 v26, null, s13, v13, vcc_lo
	v_add_co_u32 v20, vcc_lo, v1, v10
	v_add_co_ci_u32_e64 v21, null, v27, v11, vcc_lo
	v_cmpx_gt_i32_e64 s10, v0
	s_cbranch_execz .LBB20_83
; %bb.80:
	v_mov_b32_e32 v10, v20
	v_mov_b32_e32 v11, v21
	s_andn2_b32 vcc_lo, exec_lo, s2
	s_cbranch_vccnz .LBB20_82
; %bb.81:
	v_mad_u64_u32 v[10:11], null, s14, v0, 0
	v_mad_u64_u32 v[11:12], null, s15, v0, v[11:12]
	v_lshlrev_b64 v[10:11], 3, v[10:11]
	v_add_co_u32 v10, vcc_lo, v25, v10
	v_add_co_ci_u32_e64 v11, null, v26, v11, vcc_lo
	v_add_co_u32 v10, vcc_lo, 0x400, v10
	v_add_co_ci_u32_e64 v11, null, 0, v11, vcc_lo
.LBB20_82:
	global_load_dwordx2 v[10:11], v[10:11], off
	s_waitcnt vmcnt(0)
	v_cmp_neq_f32_e32 vcc_lo, 0, v10
	v_cmp_neq_f32_e64 s0, 0, v11
	s_or_b32 s0, vcc_lo, s0
	v_cndmask_b32_e64 v10, 0, 1, s0
	v_add_co_u32 v6, vcc_lo, v6, v10
	v_add_co_ci_u32_e64 v7, null, 0, v7, vcc_lo
.LBB20_83:
	s_or_b32 exec_lo, exec_lo, s4
	v_or_b32_e32 v28, 1, v0
	s_mov_b32 s4, exec_lo
	v_cmpx_gt_i32_e64 s10, v28
	s_cbranch_execz .LBB20_89
; %bb.84:
	s_andn2_b32 vcc_lo, exec_lo, s1
	s_cbranch_vccnz .LBB20_86
; %bb.85:
	global_load_dwordx2 v[10:11], v[20:21], off offset:8
	s_waitcnt vmcnt(0)
	v_cmp_neq_f32_e32 vcc_lo, 0, v10
	v_cmp_neq_f32_e64 s0, 0, v11
	s_or_b32 s0, vcc_lo, s0
	v_cndmask_b32_e64 v10, 0, 1, s0
	v_add_co_u32 v29, vcc_lo, v6, v10
	v_add_co_ci_u32_e64 v30, null, 0, v7, vcc_lo
	v_mov_b32_e32 v17, v9
	v_mov_b32_e32 v15, v7
	v_mov_b32_e32 v14, v6
	v_mov_b32_e32 v16, v8
	v_mov_b32_e32 v13, v5
	v_mov_b32_e32 v12, v4
	v_mov_b32_e32 v11, v3
	v_mov_b32_e32 v10, v2
	v_mov_b32_e32 v14, v29
	v_mov_b32_e32 v15, v30
	s_cbranch_execz .LBB20_87
	s_branch .LBB20_88
.LBB20_86:
                                        ; implicit-def: $vgpr10_vgpr11_vgpr12_vgpr13_vgpr14_vgpr15_vgpr16_vgpr17
.LBB20_87:
	v_mad_u64_u32 v[10:11], null, s14, v28, 0
	v_mad_u64_u32 v[11:12], null, s15, v28, v[11:12]
	v_lshlrev_b64 v[10:11], 3, v[10:11]
	v_add_co_u32 v10, vcc_lo, v25, v10
	v_add_co_ci_u32_e64 v11, null, v26, v11, vcc_lo
	global_load_dwordx2 v[10:11], v[10:11], off offset:1024
	s_waitcnt vmcnt(0)
	v_cmp_neq_f32_e32 vcc_lo, 0, v10
	v_cmp_neq_f32_e64 s0, 0, v11
	s_or_b32 s0, vcc_lo, s0
	v_cndmask_b32_e64 v10, 0, 1, s0
	v_add_co_u32 v6, vcc_lo, v6, v10
	v_add_co_ci_u32_e64 v7, null, 0, v7, vcc_lo
	v_mov_b32_e32 v17, v9
	v_mov_b32_e32 v16, v8
	v_mov_b32_e32 v14, v6
	v_mov_b32_e32 v15, v7
	v_mov_b32_e32 v13, v5
	v_mov_b32_e32 v12, v4
	v_mov_b32_e32 v11, v3
	v_mov_b32_e32 v10, v2
.LBB20_88:
	v_mov_b32_e32 v2, v10
	v_mov_b32_e32 v3, v11
	v_mov_b32_e32 v4, v12
	v_mov_b32_e32 v5, v13
	v_mov_b32_e32 v6, v14
	v_mov_b32_e32 v7, v15
	v_mov_b32_e32 v8, v16
	v_mov_b32_e32 v9, v17
.LBB20_89:
	s_or_b32 exec_lo, exec_lo, s4
	v_or_b32_e32 v28, 2, v0
	s_mov_b32 s4, exec_lo
	v_cmpx_gt_i32_e64 s10, v28
	s_cbranch_execz .LBB20_95
; %bb.90:
	s_andn2_b32 vcc_lo, exec_lo, s1
	s_cbranch_vccnz .LBB20_92
; %bb.91:
	global_load_dwordx2 v[10:11], v[20:21], off offset:16
	s_waitcnt vmcnt(0)
	v_cmp_neq_f32_e32 vcc_lo, 0, v10
	v_cmp_neq_f32_e64 s0, 0, v11
	s_or_b32 s0, vcc_lo, s0
	v_cndmask_b32_e64 v10, 0, 1, s0
	v_add_co_u32 v29, vcc_lo, v6, v10
	v_add_co_ci_u32_e64 v30, null, 0, v7, vcc_lo
	v_mov_b32_e32 v17, v9
	v_mov_b32_e32 v15, v7
	v_mov_b32_e32 v14, v6
	v_mov_b32_e32 v16, v8
	v_mov_b32_e32 v13, v5
	v_mov_b32_e32 v12, v4
	v_mov_b32_e32 v11, v3
	v_mov_b32_e32 v10, v2
	v_mov_b32_e32 v14, v29
	v_mov_b32_e32 v15, v30
	s_cbranch_execz .LBB20_93
	s_branch .LBB20_94
.LBB20_92:
                                        ; implicit-def: $vgpr10_vgpr11_vgpr12_vgpr13_vgpr14_vgpr15_vgpr16_vgpr17
.LBB20_93:
	v_mad_u64_u32 v[10:11], null, s14, v28, 0
	v_mad_u64_u32 v[11:12], null, s15, v28, v[11:12]
	v_lshlrev_b64 v[10:11], 3, v[10:11]
	v_add_co_u32 v10, vcc_lo, v25, v10
	v_add_co_ci_u32_e64 v11, null, v26, v11, vcc_lo
	global_load_dwordx2 v[10:11], v[10:11], off offset:1024
	s_waitcnt vmcnt(0)
	v_cmp_neq_f32_e32 vcc_lo, 0, v10
	v_cmp_neq_f32_e64 s0, 0, v11
	s_or_b32 s0, vcc_lo, s0
	v_cndmask_b32_e64 v10, 0, 1, s0
	v_add_co_u32 v6, vcc_lo, v6, v10
	v_add_co_ci_u32_e64 v7, null, 0, v7, vcc_lo
	v_mov_b32_e32 v17, v9
	v_mov_b32_e32 v16, v8
	v_mov_b32_e32 v14, v6
	v_mov_b32_e32 v15, v7
	v_mov_b32_e32 v13, v5
	v_mov_b32_e32 v12, v4
	v_mov_b32_e32 v11, v3
	v_mov_b32_e32 v10, v2
.LBB20_94:
	v_mov_b32_e32 v2, v10
	v_mov_b32_e32 v3, v11
	v_mov_b32_e32 v4, v12
	v_mov_b32_e32 v5, v13
	v_mov_b32_e32 v6, v14
	v_mov_b32_e32 v7, v15
	v_mov_b32_e32 v8, v16
	v_mov_b32_e32 v9, v17
.LBB20_95:
	;; [unrolled: 63-line block ×3, first 2 shown]
	s_or_b32 exec_lo, exec_lo, s4
	s_or_b32 exec_lo, exec_lo, s3
	s_mov_b32 s3, exec_lo
	v_cmpx_gt_i32_e64 s9, v24
	s_cbranch_execz .LBB20_125
.LBB20_102:
	v_ashrrev_i32_e32 v12, 31, v24
	v_mul_lo_u32 v13, s15, v24
	v_mad_u64_u32 v[10:11], null, s14, v24, 0
	s_mov_b32 s4, exec_lo
	v_mul_lo_u32 v12, s14, v12
	v_add3_u32 v11, v11, v12, v13
	v_lshlrev_b64 v[12:13], 3, v[18:19]
	v_lshlrev_b64 v[10:11], 3, v[10:11]
	v_add_co_u32 v20, vcc_lo, s12, v12
	v_add_co_ci_u32_e64 v21, null, s13, v13, vcc_lo
	v_add_co_u32 v18, vcc_lo, v1, v10
	v_add_co_ci_u32_e64 v19, null, v27, v11, vcc_lo
	v_cmpx_gt_i32_e64 s10, v0
	s_cbranch_execz .LBB20_106
; %bb.103:
	v_mov_b32_e32 v10, v18
	v_mov_b32_e32 v11, v19
	s_andn2_b32 vcc_lo, exec_lo, s2
	s_cbranch_vccnz .LBB20_105
; %bb.104:
	v_mad_u64_u32 v[10:11], null, s14, v0, 0
	v_mov_b32_e32 v1, v11
	v_mad_u64_u32 v[11:12], null, s15, v0, v[1:2]
	v_lshlrev_b64 v[10:11], 3, v[10:11]
	v_add_co_u32 v1, vcc_lo, v20, v10
	v_add_co_ci_u32_e64 v11, null, v21, v11, vcc_lo
	v_add_co_u32 v10, vcc_lo, 0x600, v1
	v_add_co_ci_u32_e64 v11, null, 0, v11, vcc_lo
.LBB20_105:
	global_load_dwordx2 v[10:11], v[10:11], off
	s_waitcnt vmcnt(0)
	v_cmp_neq_f32_e32 vcc_lo, 0, v10
	v_cmp_neq_f32_e64 s0, 0, v11
	s_or_b32 s0, vcc_lo, s0
	v_cndmask_b32_e64 v1, 0, 1, s0
	v_add_co_u32 v8, vcc_lo, v8, v1
	v_add_co_ci_u32_e64 v9, null, 0, v9, vcc_lo
.LBB20_106:
	s_or_b32 exec_lo, exec_lo, s4
	v_or_b32_e32 v24, 1, v0
	v_cndmask_b32_e64 v1, 0, 1, s1
	s_mov_b32 s2, exec_lo
	v_cmpx_gt_i32_e64 s10, v24
	s_cbranch_execz .LBB20_112
; %bb.107:
	s_andn2_b32 vcc_lo, exec_lo, s1
	s_cbranch_vccnz .LBB20_109
; %bb.108:
	global_load_dwordx2 v[10:11], v[18:19], off offset:8
	s_waitcnt vmcnt(0)
	v_cmp_neq_f32_e32 vcc_lo, 0, v10
	v_cmp_neq_f32_e64 s0, 0, v11
	s_or_b32 s0, vcc_lo, s0
	v_cndmask_b32_e64 v10, 0, 1, s0
	v_add_co_u32 v25, vcc_lo, v8, v10
	v_add_co_ci_u32_e64 v26, null, 0, v9, vcc_lo
	v_mov_b32_e32 v17, v9
	v_mov_b32_e32 v16, v8
	v_mov_b32_e32 v15, v7
	v_mov_b32_e32 v14, v6
	v_mov_b32_e32 v13, v5
	v_mov_b32_e32 v12, v4
	v_mov_b32_e32 v11, v3
	v_mov_b32_e32 v10, v2
	v_mov_b32_e32 v16, v25
	v_mov_b32_e32 v17, v26
	s_cbranch_execz .LBB20_110
	s_branch .LBB20_111
.LBB20_109:
                                        ; implicit-def: $vgpr10_vgpr11_vgpr12_vgpr13_vgpr14_vgpr15_vgpr16_vgpr17
.LBB20_110:
	v_mad_u64_u32 v[10:11], null, s14, v24, 0
	v_mad_u64_u32 v[11:12], null, s15, v24, v[11:12]
	v_lshlrev_b64 v[10:11], 3, v[10:11]
	v_add_co_u32 v10, vcc_lo, v20, v10
	v_add_co_ci_u32_e64 v11, null, v21, v11, vcc_lo
	global_load_dwordx2 v[10:11], v[10:11], off offset:1536
	s_waitcnt vmcnt(0)
	v_cmp_neq_f32_e32 vcc_lo, 0, v10
	v_cmp_neq_f32_e64 s0, 0, v11
	s_or_b32 s0, vcc_lo, s0
	v_cndmask_b32_e64 v10, 0, 1, s0
	v_add_co_u32 v8, vcc_lo, v8, v10
	v_add_co_ci_u32_e64 v9, null, 0, v9, vcc_lo
	v_mov_b32_e32 v17, v9
	v_mov_b32_e32 v16, v8
	;; [unrolled: 1-line block ×8, first 2 shown]
.LBB20_111:
	v_mov_b32_e32 v2, v10
	v_mov_b32_e32 v3, v11
	;; [unrolled: 1-line block ×8, first 2 shown]
.LBB20_112:
	s_or_b32 exec_lo, exec_lo, s2
	v_or_b32_e32 v24, 2, v0
	s_mov_b32 s1, exec_lo
	v_cmpx_gt_i32_e64 s10, v24
	s_cbranch_execz .LBB20_118
; %bb.113:
	v_cmp_ne_u32_e32 vcc_lo, 1, v1
	s_cbranch_vccnz .LBB20_115
; %bb.114:
	global_load_dwordx2 v[10:11], v[18:19], off offset:16
	s_waitcnt vmcnt(0)
	v_cmp_neq_f32_e32 vcc_lo, 0, v10
	v_cmp_neq_f32_e64 s0, 0, v11
	s_or_b32 s0, vcc_lo, s0
	v_cndmask_b32_e64 v10, 0, 1, s0
	v_add_co_u32 v25, vcc_lo, v8, v10
	v_add_co_ci_u32_e64 v26, null, 0, v9, vcc_lo
	v_mov_b32_e32 v17, v9
	v_mov_b32_e32 v16, v8
	;; [unrolled: 1-line block ×10, first 2 shown]
	s_cbranch_execz .LBB20_116
	s_branch .LBB20_117
.LBB20_115:
                                        ; implicit-def: $vgpr10_vgpr11_vgpr12_vgpr13_vgpr14_vgpr15_vgpr16_vgpr17
.LBB20_116:
	v_mad_u64_u32 v[10:11], null, s14, v24, 0
	v_mad_u64_u32 v[11:12], null, s15, v24, v[11:12]
	v_lshlrev_b64 v[10:11], 3, v[10:11]
	v_add_co_u32 v10, vcc_lo, v20, v10
	v_add_co_ci_u32_e64 v11, null, v21, v11, vcc_lo
	global_load_dwordx2 v[10:11], v[10:11], off offset:1536
	s_waitcnt vmcnt(0)
	v_cmp_neq_f32_e32 vcc_lo, 0, v10
	v_cmp_neq_f32_e64 s0, 0, v11
	s_or_b32 s0, vcc_lo, s0
	v_cndmask_b32_e64 v10, 0, 1, s0
	v_add_co_u32 v8, vcc_lo, v8, v10
	v_add_co_ci_u32_e64 v9, null, 0, v9, vcc_lo
	v_mov_b32_e32 v17, v9
	v_mov_b32_e32 v16, v8
	;; [unrolled: 1-line block ×8, first 2 shown]
.LBB20_117:
	v_mov_b32_e32 v2, v10
	v_mov_b32_e32 v3, v11
	;; [unrolled: 1-line block ×8, first 2 shown]
.LBB20_118:
	s_or_b32 exec_lo, exec_lo, s1
	v_or_b32_e32 v0, 3, v0
	s_mov_b32 s1, exec_lo
	v_cmpx_gt_i32_e64 s10, v0
	s_cbranch_execz .LBB20_124
; %bb.119:
	v_cmp_ne_u32_e32 vcc_lo, 1, v1
	s_cbranch_vccnz .LBB20_121
; %bb.120:
	global_load_dwordx2 v[10:11], v[18:19], off offset:24
	s_waitcnt vmcnt(0)
	v_cmp_neq_f32_e32 vcc_lo, 0, v10
	v_cmp_neq_f32_e64 s0, 0, v11
	v_mov_b32_e32 v17, v9
	v_mov_b32_e32 v16, v8
	;; [unrolled: 1-line block ×4, first 2 shown]
	s_or_b32 s0, vcc_lo, s0
	v_mov_b32_e32 v13, v5
	v_cndmask_b32_e64 v1, 0, 1, s0
	v_mov_b32_e32 v12, v4
	v_mov_b32_e32 v11, v3
	;; [unrolled: 1-line block ×3, first 2 shown]
	v_add_co_u32 v1, vcc_lo, v8, v1
	v_add_co_ci_u32_e64 v18, null, 0, v9, vcc_lo
	v_mov_b32_e32 v16, v1
	v_mov_b32_e32 v17, v18
	s_cbranch_execz .LBB20_122
	s_branch .LBB20_123
.LBB20_121:
                                        ; implicit-def: $vgpr10_vgpr11_vgpr12_vgpr13_vgpr14_vgpr15_vgpr16_vgpr17
.LBB20_122:
	v_mad_u64_u32 v[10:11], null, s14, v0, 0
	v_mov_b32_e32 v1, v11
	v_mad_u64_u32 v[0:1], null, s15, v0, v[1:2]
	v_mov_b32_e32 v11, v0
	v_lshlrev_b64 v[0:1], 3, v[10:11]
	v_add_co_u32 v0, vcc_lo, v20, v0
	v_add_co_ci_u32_e64 v1, null, v21, v1, vcc_lo
	global_load_dwordx2 v[0:1], v[0:1], off offset:1536
	s_waitcnt vmcnt(0)
	v_cmp_neq_f32_e32 vcc_lo, 0, v0
	v_cmp_neq_f32_e64 s0, 0, v1
	s_or_b32 s0, vcc_lo, s0
	v_cndmask_b32_e64 v0, 0, 1, s0
	v_add_co_u32 v8, vcc_lo, v8, v0
	v_add_co_ci_u32_e64 v9, null, 0, v9, vcc_lo
	v_mov_b32_e32 v17, v9
	v_mov_b32_e32 v16, v8
	;; [unrolled: 1-line block ×8, first 2 shown]
.LBB20_123:
	v_mov_b32_e32 v2, v10
	v_mov_b32_e32 v3, v11
	v_mov_b32_e32 v4, v12
	v_mov_b32_e32 v5, v13
	v_mov_b32_e32 v6, v14
	v_mov_b32_e32 v7, v15
	v_mov_b32_e32 v8, v16
	v_mov_b32_e32 v9, v17
.LBB20_124:
	s_or_b32 exec_lo, exec_lo, s1
.LBB20_125:
	s_or_b32 exec_lo, exec_lo, s3
.LBB20_126:
	v_lshlrev_b32_e32 v0, 5, v22
	v_lshlrev_b32_e32 v1, 3, v23
	s_mov_b32 s0, exec_lo
	v_and_or_b32 v0, 0xfffff800, v0, v1
	ds_write2st64_b64 v0, v[2:3], v[4:5] offset1:1
	ds_write2st64_b64 v0, v[6:7], v[8:9] offset0:2 offset1:3
	s_waitcnt lgkmcnt(0)
	s_barrier
	buffer_gl0_inv
	v_cmpx_gt_u32_e32 0x100, v22
	s_cbranch_execz .LBB20_129
; %bb.127:
	v_lshlrev_b32_e32 v12, 3, v22
	ds_read2st64_b64 v[0:3], v12 offset1:4
	ds_read2st64_b64 v[4:7], v12 offset0:8 offset1:12
	ds_read2st64_b64 v[8:11], v12 offset0:16 offset1:20
	s_waitcnt lgkmcnt(2)
	v_add_co_u32 v13, vcc_lo, v0, v2
	v_add_co_ci_u32_e64 v14, null, v1, v3, vcc_lo
	ds_read2st64_b64 v[0:3], v12 offset0:24 offset1:28
	s_waitcnt lgkmcnt(2)
	v_add_co_u32 v4, vcc_lo, v13, v4
	v_add_co_ci_u32_e64 v5, null, v14, v5, vcc_lo
	v_add_co_u32 v13, vcc_lo, v4, v6
	v_add_co_ci_u32_e64 v14, null, v5, v7, vcc_lo
	ds_read2st64_b64 v[4:7], v12 offset0:32 offset1:36
	s_waitcnt lgkmcnt(2)
	v_add_co_u32 v8, vcc_lo, v13, v8
	v_add_co_ci_u32_e64 v9, null, v14, v9, vcc_lo
	;; [unrolled: 6-line block ×5, first 2 shown]
	v_add_co_u32 v8, vcc_lo, v8, v10
	v_add_co_ci_u32_e64 v9, null, v9, v11, vcc_lo
	s_waitcnt lgkmcnt(1)
	v_add_co_u32 v0, vcc_lo, v8, v0
	v_add_co_ci_u32_e64 v1, null, v9, v1, vcc_lo
	v_add_co_u32 v0, vcc_lo, v0, v2
	v_add_co_ci_u32_e64 v1, null, v1, v3, vcc_lo
	v_add_nc_u32_e32 v2, s11, v22
	s_waitcnt lgkmcnt(0)
	v_add_co_u32 v0, vcc_lo, v0, v4
	v_add_co_ci_u32_e64 v1, null, v1, v5, vcc_lo
	v_add_co_u32 v0, vcc_lo, v0, v6
	v_add_co_ci_u32_e64 v1, null, v1, v7, vcc_lo
	v_cmp_gt_i32_e32 vcc_lo, s9, v2
	ds_write_b64 v12, v[0:1]
	s_and_b32 exec_lo, exec_lo, vcc_lo
	s_cbranch_execz .LBB20_129
; %bb.128:
	v_ashrrev_i32_e32 v3, 31, v2
	v_lshlrev_b64 v[2:3], 3, v[2:3]
	v_add_co_u32 v2, vcc_lo, s16, v2
	v_add_co_ci_u32_e64 v3, null, s17, v3, vcc_lo
	global_store_dwordx2 v[2:3], v[0:1], off
.LBB20_129:
	s_endpgm
	.section	.rodata,"a",@progbits
	.p2align	6, 0x0
	.amdhsa_kernel _ZN9rocsparseL14nnz_kernel_rowILi64ELi16Eli21rocsparse_complex_numIfEEEv16rocsparse_order_T2_S4_PKT3_lPT1_
		.amdhsa_group_segment_fixed_size 32768
		.amdhsa_private_segment_fixed_size 0
		.amdhsa_kernarg_size 296
		.amdhsa_user_sgpr_count 6
		.amdhsa_user_sgpr_private_segment_buffer 1
		.amdhsa_user_sgpr_dispatch_ptr 0
		.amdhsa_user_sgpr_queue_ptr 0
		.amdhsa_user_sgpr_kernarg_segment_ptr 1
		.amdhsa_user_sgpr_dispatch_id 0
		.amdhsa_user_sgpr_flat_scratch_init 0
		.amdhsa_user_sgpr_private_segment_size 0
		.amdhsa_wavefront_size32 1
		.amdhsa_uses_dynamic_stack 0
		.amdhsa_system_sgpr_private_segment_wavefront_offset 0
		.amdhsa_system_sgpr_workgroup_id_x 1
		.amdhsa_system_sgpr_workgroup_id_y 0
		.amdhsa_system_sgpr_workgroup_id_z 0
		.amdhsa_system_sgpr_workgroup_info 0
		.amdhsa_system_vgpr_workitem_id 1
		.amdhsa_next_free_vgpr 40
		.amdhsa_next_free_sgpr 23
		.amdhsa_reserve_vcc 1
		.amdhsa_reserve_flat_scratch 0
		.amdhsa_float_round_mode_32 0
		.amdhsa_float_round_mode_16_64 0
		.amdhsa_float_denorm_mode_32 3
		.amdhsa_float_denorm_mode_16_64 3
		.amdhsa_dx10_clamp 1
		.amdhsa_ieee_mode 1
		.amdhsa_fp16_overflow 0
		.amdhsa_workgroup_processor_mode 1
		.amdhsa_memory_ordered 1
		.amdhsa_forward_progress 1
		.amdhsa_shared_vgpr_count 0
		.amdhsa_exception_fp_ieee_invalid_op 0
		.amdhsa_exception_fp_denorm_src 0
		.amdhsa_exception_fp_ieee_div_zero 0
		.amdhsa_exception_fp_ieee_overflow 0
		.amdhsa_exception_fp_ieee_underflow 0
		.amdhsa_exception_fp_ieee_inexact 0
		.amdhsa_exception_int_div_zero 0
	.end_amdhsa_kernel
	.section	.text._ZN9rocsparseL14nnz_kernel_rowILi64ELi16Eli21rocsparse_complex_numIfEEEv16rocsparse_order_T2_S4_PKT3_lPT1_,"axG",@progbits,_ZN9rocsparseL14nnz_kernel_rowILi64ELi16Eli21rocsparse_complex_numIfEEEv16rocsparse_order_T2_S4_PKT3_lPT1_,comdat
.Lfunc_end20:
	.size	_ZN9rocsparseL14nnz_kernel_rowILi64ELi16Eli21rocsparse_complex_numIfEEEv16rocsparse_order_T2_S4_PKT3_lPT1_, .Lfunc_end20-_ZN9rocsparseL14nnz_kernel_rowILi64ELi16Eli21rocsparse_complex_numIfEEEv16rocsparse_order_T2_S4_PKT3_lPT1_
                                        ; -- End function
	.set _ZN9rocsparseL14nnz_kernel_rowILi64ELi16Eli21rocsparse_complex_numIfEEEv16rocsparse_order_T2_S4_PKT3_lPT1_.num_vgpr, 40
	.set _ZN9rocsparseL14nnz_kernel_rowILi64ELi16Eli21rocsparse_complex_numIfEEEv16rocsparse_order_T2_S4_PKT3_lPT1_.num_agpr, 0
	.set _ZN9rocsparseL14nnz_kernel_rowILi64ELi16Eli21rocsparse_complex_numIfEEEv16rocsparse_order_T2_S4_PKT3_lPT1_.numbered_sgpr, 23
	.set _ZN9rocsparseL14nnz_kernel_rowILi64ELi16Eli21rocsparse_complex_numIfEEEv16rocsparse_order_T2_S4_PKT3_lPT1_.num_named_barrier, 0
	.set _ZN9rocsparseL14nnz_kernel_rowILi64ELi16Eli21rocsparse_complex_numIfEEEv16rocsparse_order_T2_S4_PKT3_lPT1_.private_seg_size, 0
	.set _ZN9rocsparseL14nnz_kernel_rowILi64ELi16Eli21rocsparse_complex_numIfEEEv16rocsparse_order_T2_S4_PKT3_lPT1_.uses_vcc, 1
	.set _ZN9rocsparseL14nnz_kernel_rowILi64ELi16Eli21rocsparse_complex_numIfEEEv16rocsparse_order_T2_S4_PKT3_lPT1_.uses_flat_scratch, 0
	.set _ZN9rocsparseL14nnz_kernel_rowILi64ELi16Eli21rocsparse_complex_numIfEEEv16rocsparse_order_T2_S4_PKT3_lPT1_.has_dyn_sized_stack, 0
	.set _ZN9rocsparseL14nnz_kernel_rowILi64ELi16Eli21rocsparse_complex_numIfEEEv16rocsparse_order_T2_S4_PKT3_lPT1_.has_recursion, 0
	.set _ZN9rocsparseL14nnz_kernel_rowILi64ELi16Eli21rocsparse_complex_numIfEEEv16rocsparse_order_T2_S4_PKT3_lPT1_.has_indirect_call, 0
	.section	.AMDGPU.csdata,"",@progbits
; Kernel info:
; codeLenInByte = 8400
; TotalNumSgprs: 25
; NumVgprs: 40
; ScratchSize: 0
; MemoryBound: 0
; FloatMode: 240
; IeeeMode: 1
; LDSByteSize: 32768 bytes/workgroup (compile time only)
; SGPRBlocks: 0
; VGPRBlocks: 4
; NumSGPRsForWavesPerEU: 25
; NumVGPRsForWavesPerEU: 40
; Occupancy: 16
; WaveLimiterHint : 0
; COMPUTE_PGM_RSRC2:SCRATCH_EN: 0
; COMPUTE_PGM_RSRC2:USER_SGPR: 6
; COMPUTE_PGM_RSRC2:TRAP_HANDLER: 0
; COMPUTE_PGM_RSRC2:TGID_X_EN: 1
; COMPUTE_PGM_RSRC2:TGID_Y_EN: 0
; COMPUTE_PGM_RSRC2:TGID_Z_EN: 0
; COMPUTE_PGM_RSRC2:TIDIG_COMP_CNT: 1
	.section	.text._ZN9rocsparseL14nnz_kernel_colILi256Eli21rocsparse_complex_numIfEEEv16rocsparse_order_T1_S4_PKT2_lPT0_,"axG",@progbits,_ZN9rocsparseL14nnz_kernel_colILi256Eli21rocsparse_complex_numIfEEEv16rocsparse_order_T1_S4_PKT2_lPT0_,comdat
	.globl	_ZN9rocsparseL14nnz_kernel_colILi256Eli21rocsparse_complex_numIfEEEv16rocsparse_order_T1_S4_PKT2_lPT0_ ; -- Begin function _ZN9rocsparseL14nnz_kernel_colILi256Eli21rocsparse_complex_numIfEEEv16rocsparse_order_T1_S4_PKT2_lPT0_
	.p2align	8
	.type	_ZN9rocsparseL14nnz_kernel_colILi256Eli21rocsparse_complex_numIfEEEv16rocsparse_order_T1_S4_PKT2_lPT0_,@function
_ZN9rocsparseL14nnz_kernel_colILi256Eli21rocsparse_complex_numIfEEEv16rocsparse_order_T1_S4_PKT2_lPT0_: ; @_ZN9rocsparseL14nnz_kernel_colILi256Eli21rocsparse_complex_numIfEEEv16rocsparse_order_T1_S4_PKT2_lPT0_
; %bb.0:
	s_clause 0x1
	s_load_dwordx2 s[2:3], s[4:5], 0x0
	s_load_dwordx4 s[8:11], s[4:5], 0x10
	s_waitcnt lgkmcnt(0)
	s_ashr_i32 s0, s3, 31
	s_lshr_b32 s0, s0, 24
	s_add_i32 s0, s3, s0
	s_and_b32 s12, s0, 0xffffff00
	s_cmp_eq_u32 s2, 1
	s_cbranch_scc1 .LBB21_6
; %bb.1:
	v_mov_b32_e32 v1, 0
	v_mov_b32_e32 v2, 0
	s_cmpk_lt_i32 s3, 0x100
	s_cbranch_scc1 .LBB21_7
; %bb.2:
	v_mad_u64_u32 v[1:2], null, s10, v0, 0
	s_ashr_i32 s7, s6, 31
	s_lshl_b64 s[0:1], s[6:7], 3
	s_add_u32 s0, s8, s0
	s_addc_u32 s1, s9, s1
	v_mad_u64_u32 v[2:3], null, s11, v0, v[2:3]
	s_lshl_b64 s[14:15], s[10:11], 11
	v_lshlrev_b64 v[1:2], 3, v[1:2]
	v_add_co_u32 v3, vcc_lo, s0, v1
	v_add_co_ci_u32_e64 v4, null, s1, v2, vcc_lo
	v_mov_b32_e32 v1, 0
	v_add_co_u32 v3, vcc_lo, v3, 4
	v_mov_b32_e32 v2, 0
	v_add_co_ci_u32_e64 v4, null, 0, v4, vcc_lo
	s_mov_b32 s1, 0
	s_inst_prefetch 0x1
	s_branch .LBB21_4
	.p2align	6
.LBB21_3:                               ;   in Loop: Header=BB21_4 Depth=1
	s_or_b32 exec_lo, exec_lo, s2
	v_add_co_u32 v3, vcc_lo, v3, s14
	v_add_co_ci_u32_e64 v4, null, s15, v4, vcc_lo
	s_addk_i32 s1, 0x100
	s_cmp_ge_i32 s1, s12
	s_cbranch_scc1 .LBB21_7
.LBB21_4:                               ; =>This Inner Loop Header: Depth=1
	v_add_nc_u32_e32 v5, s1, v0
	s_mov_b32 s2, exec_lo
	v_cmpx_gt_i32_e64 s3, v5
	s_cbranch_execz .LBB21_3
; %bb.5:                                ;   in Loop: Header=BB21_4 Depth=1
	global_load_dwordx2 v[5:6], v[3:4], off offset:-4
	s_waitcnt vmcnt(0)
	v_cmp_neq_f32_e32 vcc_lo, 0, v5
	v_cmp_neq_f32_e64 s0, 0, v6
	s_or_b32 s0, vcc_lo, s0
	v_cndmask_b32_e64 v5, 0, 1, s0
	v_add_co_u32 v1, vcc_lo, v1, v5
	v_add_co_ci_u32_e64 v2, null, 0, v2, vcc_lo
	s_branch .LBB21_3
.LBB21_6:
	s_mov_b32 s2, 0
                                        ; implicit-def: $vgpr1_vgpr2
                                        ; implicit-def: $vgpr3_vgpr4
	s_cbranch_execnz .LBB21_10
	s_branch .LBB21_16
.LBB21_7:
	s_inst_prefetch 0x2
	v_add_nc_u32_e32 v5, s12, v0
	s_mov_b32 s0, 0
	s_mov_b32 s2, 0
	s_mov_b32 s1, exec_lo
                                        ; implicit-def: $vgpr3_vgpr4
	v_cmpx_gt_i32_e64 s3, v5
	s_xor_b32 s1, exec_lo, s1
	s_cbranch_execz .LBB21_9
; %bb.8:
	v_ashrrev_i32_e32 v6, 31, v5
	v_mul_lo_u32 v7, s11, v5
	v_mad_u64_u32 v[3:4], null, s10, v5, 0
	s_ashr_i32 s7, s6, 31
	v_mul_lo_u32 v5, s10, v6
	s_lshl_b64 s[14:15], s[6:7], 3
	s_mov_b32 s2, exec_lo
	v_add3_u32 v4, v4, v5, v7
	v_lshlrev_b64 v[3:4], 3, v[3:4]
	v_add_co_u32 v3, vcc_lo, s8, v3
	v_add_co_ci_u32_e64 v4, null, s9, v4, vcc_lo
	v_add_co_u32 v3, vcc_lo, v3, s14
	v_add_co_ci_u32_e64 v4, null, s15, v4, vcc_lo
.LBB21_9:
	s_or_b32 exec_lo, exec_lo, s1
	s_and_b32 vcc_lo, exec_lo, s0
	s_cbranch_vccz .LBB21_16
.LBB21_10:
	v_cmp_gt_i32_e32 vcc_lo, s3, v0
	s_ashr_i32 s0, s6, 31
	s_mul_hi_u32 s1, s10, s6
	s_mul_i32 s0, s10, s0
	v_mov_b32_e32 v1, 0
	v_cndmask_b32_e32 v3, 0, v0, vcc_lo
	s_add_i32 s0, s1, s0
	s_mul_i32 s1, s11, s6
	v_mov_b32_e32 v2, 0
	s_add_i32 s11, s0, s1
	v_lshlrev_b32_e32 v5, 3, v3
	s_mul_i32 s10, s10, s6
	s_cmpk_lt_i32 s3, 0x100
	s_mov_b32 s7, 0
	s_cbranch_scc1 .LBB21_13
; %bb.11:
	s_lshl_b64 s[0:1], s[10:11], 3
	v_mov_b32_e32 v1, 0
	s_add_u32 s0, s8, s0
	s_addc_u32 s1, s9, s1
	v_add_co_u32 v3, s0, s0, v5
	v_add_co_ci_u32_e64 v4, null, s1, 0, s0
	v_mov_b32_e32 v2, 0
	v_add_co_u32 v3, vcc_lo, v3, 4
	v_add_co_ci_u32_e64 v4, null, 0, v4, vcc_lo
	.p2align	6
.LBB21_12:                              ; =>This Inner Loop Header: Depth=1
	global_load_dwordx2 v[6:7], v[3:4], off offset:-4
	v_add_co_u32 v3, s1, 0x800, v3
	v_add_co_ci_u32_e64 v4, null, 0, v4, s1
	s_addk_i32 s7, 0x100
	s_waitcnt vmcnt(0)
	v_cmp_neq_f32_e32 vcc_lo, 0, v6
	v_cmp_neq_f32_e64 s0, 0, v7
	s_or_b32 s0, vcc_lo, s0
	s_cmp_ge_i32 s7, s12
	v_cndmask_b32_e64 v6, 0, 1, s0
	v_add_co_u32 v1, vcc_lo, v1, v6
	v_add_co_ci_u32_e64 v2, null, 0, v2, vcc_lo
	s_cbranch_scc0 .LBB21_12
.LBB21_13:
	v_add_nc_u32_e32 v3, s12, v0
	v_cmp_gt_i32_e32 vcc_lo, s3, v3
                                        ; implicit-def: $vgpr3_vgpr4
	s_and_saveexec_b32 s0, vcc_lo
; %bb.14:
	s_lshl_b64 s[10:11], s[10:11], 3
	s_add_u32 s1, s8, s10
	s_addc_u32 s7, s9, s11
	v_add_co_u32 v3, s1, s1, v5
	s_ashr_i32 s13, s12, 31
	v_add_co_ci_u32_e64 v4, null, s7, 0, s1
	s_lshl_b64 s[8:9], s[12:13], 3
	s_or_b32 s2, s2, exec_lo
	v_add_co_u32 v3, vcc_lo, v3, s8
	v_add_co_ci_u32_e64 v4, null, s9, v4, vcc_lo
; %bb.15:
	s_or_b32 exec_lo, exec_lo, s0
.LBB21_16:
	s_and_saveexec_b32 s1, s2
	s_cbranch_execz .LBB21_18
; %bb.17:
	global_load_dwordx2 v[3:4], v[3:4], off
	s_waitcnt vmcnt(0)
	v_cmp_neq_f32_e32 vcc_lo, 0, v3
	v_cmp_neq_f32_e64 s0, 0, v4
	s_or_b32 s0, vcc_lo, s0
	v_cndmask_b32_e64 v3, 0, 1, s0
	v_add_co_u32 v1, vcc_lo, v1, v3
	v_add_co_ci_u32_e64 v2, null, 0, v2, vcc_lo
.LBB21_18:
	s_or_b32 exec_lo, exec_lo, s1
	v_lshlrev_b32_e32 v3, 3, v0
	s_cmpk_lt_i32 s3, 0x100
	s_mov_b32 s0, -1
	v_cmp_eq_u32_e32 vcc_lo, 0, v0
	ds_write_b64 v3, v[1:2]
	s_waitcnt lgkmcnt(0)
	s_cbranch_scc0 .LBB21_29
; %bb.19:
	s_cmp_gt_i32 s3, 1
	s_mov_b32 s2, 1
	s_cselect_b32 s0, -1, 0
	s_barrier
	s_and_b32 s1, vcc_lo, s0
	buffer_gl0_inv
	s_and_saveexec_b32 s0, s1
	s_cbranch_execz .LBB21_28
; %bb.20:
	v_mov_b32_e32 v1, 0
	s_add_i32 s7, s3, -2
	s_add_i32 s1, s3, -1
	s_cmp_lt_u32 s7, 7
	ds_read_b64 v[1:2], v1
	s_cbranch_scc1 .LBB21_24
; %bb.21:
	s_and_b32 s2, s1, -8
	s_mov_b32 s7, 0
	s_mov_b32 s3, 8
	s_inst_prefetch 0x1
	.p2align	6
.LBB21_22:                              ; =>This Inner Loop Header: Depth=1
	v_mov_b32_e32 v16, s3
	s_mov_b32 s8, s7
	s_add_i32 s7, s7, 8
	s_add_i32 s3, s3, 64
	s_cmp_lg_u32 s2, s7
	ds_read2_b64 v[4:7], v16 offset1:1
	ds_read2_b64 v[8:11], v16 offset0:2 offset1:3
	ds_read2_b64 v[12:15], v16 offset0:4 offset1:5
	s_waitcnt lgkmcnt(2)
	v_add_co_u32 v1, vcc_lo, v1, v4
	v_add_co_ci_u32_e64 v2, null, v2, v5, vcc_lo
	v_add_co_u32 v1, vcc_lo, v1, v6
	v_add_co_ci_u32_e64 v2, null, v2, v7, vcc_lo
	ds_read2_b64 v[4:7], v16 offset0:6 offset1:7
	s_waitcnt lgkmcnt(2)
	v_add_co_u32 v1, vcc_lo, v1, v8
	v_add_co_ci_u32_e64 v2, null, v2, v9, vcc_lo
	v_add_co_u32 v1, vcc_lo, v1, v10
	v_add_co_ci_u32_e64 v2, null, v2, v11, vcc_lo
	s_waitcnt lgkmcnt(1)
	v_add_co_u32 v1, vcc_lo, v1, v12
	v_add_co_ci_u32_e64 v2, null, v2, v13, vcc_lo
	v_add_co_u32 v1, vcc_lo, v1, v14
	v_add_co_ci_u32_e64 v2, null, v2, v15, vcc_lo
	;; [unrolled: 5-line block ×3, first 2 shown]
	s_cbranch_scc1 .LBB21_22
; %bb.23:
	s_inst_prefetch 0x2
	s_add_i32 s2, s8, 9
.LBB21_24:
	s_and_b32 s1, s1, 7
	s_cmp_eq_u32 s1, 0
	s_cbranch_scc1 .LBB21_27
; %bb.25:
	s_lshl_b32 s2, s2, 3
.LBB21_26:                              ; =>This Inner Loop Header: Depth=1
	v_mov_b32_e32 v4, s2
	s_add_i32 s1, s1, -1
	s_add_i32 s2, s2, 8
	s_cmp_lg_u32 s1, 0
	ds_read_b64 v[4:5], v4
	s_waitcnt lgkmcnt(0)
	v_add_co_u32 v1, vcc_lo, v1, v4
	v_add_co_ci_u32_e64 v2, null, v2, v5, vcc_lo
	s_cbranch_scc1 .LBB21_26
.LBB21_27:
	v_mov_b32_e32 v4, 0
	s_waitcnt lgkmcnt(0)
	ds_write_b64 v4, v[1:2]
.LBB21_28:
	s_or_b32 exec_lo, exec_lo, s0
	s_mov_b32 s0, 0
	s_waitcnt lgkmcnt(0)
	s_barrier
.LBB21_29:
	s_and_b32 vcc_lo, exec_lo, s0
	s_cbranch_vccz .LBB21_47
; %bb.30:
	s_mov_b32 s0, exec_lo
	s_barrier
	buffer_gl0_inv
	v_cmpx_gt_u32_e32 0x80, v0
	s_cbranch_execz .LBB21_32
; %bb.31:
	ds_read2st64_b64 v[4:7], v3 offset1:2
	s_waitcnt lgkmcnt(0)
	v_add_co_u32 v1, vcc_lo, v4, v6
	v_add_co_ci_u32_e64 v2, null, v5, v7, vcc_lo
	ds_write_b64 v3, v[1:2]
.LBB21_32:
	s_or_b32 exec_lo, exec_lo, s0
	s_mov_b32 s0, exec_lo
	s_waitcnt lgkmcnt(0)
	s_barrier
	buffer_gl0_inv
	v_cmpx_gt_u32_e32 64, v0
	s_cbranch_execz .LBB21_34
; %bb.33:
	ds_read2st64_b64 v[4:7], v3 offset1:1
	s_waitcnt lgkmcnt(0)
	v_add_co_u32 v1, vcc_lo, v4, v6
	v_add_co_ci_u32_e64 v2, null, v5, v7, vcc_lo
	ds_write_b64 v3, v[1:2]
.LBB21_34:
	s_or_b32 exec_lo, exec_lo, s0
	s_mov_b32 s0, exec_lo
	s_waitcnt lgkmcnt(0)
	s_barrier
	buffer_gl0_inv
	v_cmpx_gt_u32_e32 32, v0
	s_cbranch_execz .LBB21_36
; %bb.35:
	ds_read2_b64 v[4:7], v3 offset1:32
	s_waitcnt lgkmcnt(0)
	v_add_co_u32 v1, vcc_lo, v4, v6
	v_add_co_ci_u32_e64 v2, null, v5, v7, vcc_lo
	ds_write_b64 v3, v[1:2]
.LBB21_36:
	s_or_b32 exec_lo, exec_lo, s0
	s_mov_b32 s0, exec_lo
	s_waitcnt lgkmcnt(0)
	s_barrier
	buffer_gl0_inv
	v_cmpx_gt_u32_e32 16, v0
	s_cbranch_execz .LBB21_38
; %bb.37:
	ds_read2_b64 v[4:7], v3 offset1:16
	s_waitcnt lgkmcnt(0)
	v_add_co_u32 v1, vcc_lo, v4, v6
	v_add_co_ci_u32_e64 v2, null, v5, v7, vcc_lo
	ds_write_b64 v3, v[1:2]
.LBB21_38:
	;; [unrolled: 14-line block ×5, first 2 shown]
	s_or_b32 exec_lo, exec_lo, s0
	s_mov_b32 s0, exec_lo
	s_waitcnt lgkmcnt(0)
	s_barrier
	buffer_gl0_inv
	v_cmpx_eq_u32_e32 0, v0
	s_cbranch_execz .LBB21_46
; %bb.45:
	v_mov_b32_e32 v5, 0
	ds_read_b128 v[1:4], v5
	s_waitcnt lgkmcnt(0)
	v_add_co_u32 v1, vcc_lo, v1, v3
	v_add_co_ci_u32_e64 v2, null, v2, v4, vcc_lo
	ds_write_b64 v5, v[1:2]
.LBB21_46:
	s_or_b32 exec_lo, exec_lo, s0
	s_waitcnt lgkmcnt(0)
	s_barrier
.LBB21_47:
	buffer_gl0_inv
	s_mov_b32 s0, exec_lo
	v_cmpx_eq_u32_e32 0, v0
	s_cbranch_execz .LBB21_49
; %bb.48:
	v_mov_b32_e32 v2, 0
	s_load_dwordx2 s[0:1], s[4:5], 0x20
	s_ashr_i32 s7, s6, 31
	s_lshl_b64 s[2:3], s[6:7], 3
	ds_read_b64 v[0:1], v2
	s_waitcnt lgkmcnt(0)
	s_add_u32 s0, s0, s2
	s_addc_u32 s1, s1, s3
	global_store_dwordx2 v2, v[0:1], s[0:1]
.LBB21_49:
	s_endpgm
	.section	.rodata,"a",@progbits
	.p2align	6, 0x0
	.amdhsa_kernel _ZN9rocsparseL14nnz_kernel_colILi256Eli21rocsparse_complex_numIfEEEv16rocsparse_order_T1_S4_PKT2_lPT0_
		.amdhsa_group_segment_fixed_size 2048
		.amdhsa_private_segment_fixed_size 0
		.amdhsa_kernarg_size 40
		.amdhsa_user_sgpr_count 6
		.amdhsa_user_sgpr_private_segment_buffer 1
		.amdhsa_user_sgpr_dispatch_ptr 0
		.amdhsa_user_sgpr_queue_ptr 0
		.amdhsa_user_sgpr_kernarg_segment_ptr 1
		.amdhsa_user_sgpr_dispatch_id 0
		.amdhsa_user_sgpr_flat_scratch_init 0
		.amdhsa_user_sgpr_private_segment_size 0
		.amdhsa_wavefront_size32 1
		.amdhsa_uses_dynamic_stack 0
		.amdhsa_system_sgpr_private_segment_wavefront_offset 0
		.amdhsa_system_sgpr_workgroup_id_x 1
		.amdhsa_system_sgpr_workgroup_id_y 0
		.amdhsa_system_sgpr_workgroup_id_z 0
		.amdhsa_system_sgpr_workgroup_info 0
		.amdhsa_system_vgpr_workitem_id 0
		.amdhsa_next_free_vgpr 17
		.amdhsa_next_free_sgpr 16
		.amdhsa_reserve_vcc 1
		.amdhsa_reserve_flat_scratch 0
		.amdhsa_float_round_mode_32 0
		.amdhsa_float_round_mode_16_64 0
		.amdhsa_float_denorm_mode_32 3
		.amdhsa_float_denorm_mode_16_64 3
		.amdhsa_dx10_clamp 1
		.amdhsa_ieee_mode 1
		.amdhsa_fp16_overflow 0
		.amdhsa_workgroup_processor_mode 1
		.amdhsa_memory_ordered 1
		.amdhsa_forward_progress 1
		.amdhsa_shared_vgpr_count 0
		.amdhsa_exception_fp_ieee_invalid_op 0
		.amdhsa_exception_fp_denorm_src 0
		.amdhsa_exception_fp_ieee_div_zero 0
		.amdhsa_exception_fp_ieee_overflow 0
		.amdhsa_exception_fp_ieee_underflow 0
		.amdhsa_exception_fp_ieee_inexact 0
		.amdhsa_exception_int_div_zero 0
	.end_amdhsa_kernel
	.section	.text._ZN9rocsparseL14nnz_kernel_colILi256Eli21rocsparse_complex_numIfEEEv16rocsparse_order_T1_S4_PKT2_lPT0_,"axG",@progbits,_ZN9rocsparseL14nnz_kernel_colILi256Eli21rocsparse_complex_numIfEEEv16rocsparse_order_T1_S4_PKT2_lPT0_,comdat
.Lfunc_end21:
	.size	_ZN9rocsparseL14nnz_kernel_colILi256Eli21rocsparse_complex_numIfEEEv16rocsparse_order_T1_S4_PKT2_lPT0_, .Lfunc_end21-_ZN9rocsparseL14nnz_kernel_colILi256Eli21rocsparse_complex_numIfEEEv16rocsparse_order_T1_S4_PKT2_lPT0_
                                        ; -- End function
	.set _ZN9rocsparseL14nnz_kernel_colILi256Eli21rocsparse_complex_numIfEEEv16rocsparse_order_T1_S4_PKT2_lPT0_.num_vgpr, 17
	.set _ZN9rocsparseL14nnz_kernel_colILi256Eli21rocsparse_complex_numIfEEEv16rocsparse_order_T1_S4_PKT2_lPT0_.num_agpr, 0
	.set _ZN9rocsparseL14nnz_kernel_colILi256Eli21rocsparse_complex_numIfEEEv16rocsparse_order_T1_S4_PKT2_lPT0_.numbered_sgpr, 16
	.set _ZN9rocsparseL14nnz_kernel_colILi256Eli21rocsparse_complex_numIfEEEv16rocsparse_order_T1_S4_PKT2_lPT0_.num_named_barrier, 0
	.set _ZN9rocsparseL14nnz_kernel_colILi256Eli21rocsparse_complex_numIfEEEv16rocsparse_order_T1_S4_PKT2_lPT0_.private_seg_size, 0
	.set _ZN9rocsparseL14nnz_kernel_colILi256Eli21rocsparse_complex_numIfEEEv16rocsparse_order_T1_S4_PKT2_lPT0_.uses_vcc, 1
	.set _ZN9rocsparseL14nnz_kernel_colILi256Eli21rocsparse_complex_numIfEEEv16rocsparse_order_T1_S4_PKT2_lPT0_.uses_flat_scratch, 0
	.set _ZN9rocsparseL14nnz_kernel_colILi256Eli21rocsparse_complex_numIfEEEv16rocsparse_order_T1_S4_PKT2_lPT0_.has_dyn_sized_stack, 0
	.set _ZN9rocsparseL14nnz_kernel_colILi256Eli21rocsparse_complex_numIfEEEv16rocsparse_order_T1_S4_PKT2_lPT0_.has_recursion, 0
	.set _ZN9rocsparseL14nnz_kernel_colILi256Eli21rocsparse_complex_numIfEEEv16rocsparse_order_T1_S4_PKT2_lPT0_.has_indirect_call, 0
	.section	.AMDGPU.csdata,"",@progbits
; Kernel info:
; codeLenInByte = 1900
; TotalNumSgprs: 18
; NumVgprs: 17
; ScratchSize: 0
; MemoryBound: 0
; FloatMode: 240
; IeeeMode: 1
; LDSByteSize: 2048 bytes/workgroup (compile time only)
; SGPRBlocks: 0
; VGPRBlocks: 2
; NumSGPRsForWavesPerEU: 18
; NumVGPRsForWavesPerEU: 17
; Occupancy: 16
; WaveLimiterHint : 0
; COMPUTE_PGM_RSRC2:SCRATCH_EN: 0
; COMPUTE_PGM_RSRC2:USER_SGPR: 6
; COMPUTE_PGM_RSRC2:TRAP_HANDLER: 0
; COMPUTE_PGM_RSRC2:TGID_X_EN: 1
; COMPUTE_PGM_RSRC2:TGID_Y_EN: 0
; COMPUTE_PGM_RSRC2:TGID_Z_EN: 0
; COMPUTE_PGM_RSRC2:TIDIG_COMP_CNT: 0
	.section	.text._ZN9rocsparseL14nnz_kernel_rowILi64ELi16Eli21rocsparse_complex_numIdEEEv16rocsparse_order_T2_S4_PKT3_lPT1_,"axG",@progbits,_ZN9rocsparseL14nnz_kernel_rowILi64ELi16Eli21rocsparse_complex_numIdEEEv16rocsparse_order_T2_S4_PKT3_lPT1_,comdat
	.globl	_ZN9rocsparseL14nnz_kernel_rowILi64ELi16Eli21rocsparse_complex_numIdEEEv16rocsparse_order_T2_S4_PKT3_lPT1_ ; -- Begin function _ZN9rocsparseL14nnz_kernel_rowILi64ELi16Eli21rocsparse_complex_numIdEEEv16rocsparse_order_T2_S4_PKT3_lPT1_
	.p2align	8
	.type	_ZN9rocsparseL14nnz_kernel_rowILi64ELi16Eli21rocsparse_complex_numIdEEEv16rocsparse_order_T2_S4_PKT3_lPT1_,@function
_ZN9rocsparseL14nnz_kernel_rowILi64ELi16Eli21rocsparse_complex_numIdEEEv16rocsparse_order_T2_S4_PKT3_lPT1_: ; @_ZN9rocsparseL14nnz_kernel_rowILi64ELi16Eli21rocsparse_complex_numIdEEEv16rocsparse_order_T2_S4_PKT3_lPT1_
; %bb.0:
	s_clause 0x2
	s_load_dword s0, s[4:5], 0x34
	s_load_dwordx8 s[8:15], s[4:5], 0x0
	s_load_dwordx2 s[16:17], s[4:5], 0x20
	s_waitcnt lgkmcnt(0)
	s_lshl_b32 s11, s6, 8
	v_mov_b32_e32 v2, 0
	s_mov_b32 s22, 0
	s_mov_b32 s21, exec_lo
	v_mov_b32_e32 v3, v2
	v_mov_b32_e32 v4, v2
	;; [unrolled: 1-line block ×7, first 2 shown]
	s_and_b32 s0, s0, 0xffff
	v_mad_u32_u24 v24, v1, s0, v0
	s_ashr_i32 s0, s10, 31
	s_lshr_b32 s0, s0, 26
	s_add_i32 s20, s10, s0
	v_and_b32_e32 v25, 63, v24
	v_lshrrev_b32_e32 v0, 4, v24
	s_andn2_b32 s20, s20, 63
	v_or_b32_e32 v20, s11, v25
	v_and_b32_e32 v0, 0x7ffffc, v0
	v_or_b32_e32 v26, 64, v20
	v_or_b32_e32 v19, 0x80, v20
	;; [unrolled: 1-line block ×3, first 2 shown]
	v_cmpx_gt_i32_e64 s20, v0
	s_cbranch_execz .LBB22_28
; %bb.1:
	v_lshrrev_b32_e32 v39, 6, v24
	v_add_nc_u32_e32 v3, s11, v25
	v_and_b32_e32 v53, 0x7ffffc0, v24
	v_cmp_gt_i32_e64 s0, s9, v20
	v_cmp_gt_i32_e64 s1, s9, v26
	v_lshlrev_b32_e32 v31, 2, v39
	v_ashrrev_i32_e32 v4, 31, v3
	v_mul_lo_u32 v16, s15, v3
	v_mad_u64_u32 v[9:10], null, s14, v3, 0
	v_or_b32_e32 v13, 3, v31
	v_mul_lo_u32 v21, s14, v4
	v_or_b32_e32 v27, 2, v31
	v_add_nc_u32_e32 v17, 64, v3
	v_add_nc_u32_e32 v7, 0xc0, v3
	v_mad_u64_u32 v[5:6], null, s14, v13, 0
	v_add_nc_u32_e32 v11, 0x80, v3
	v_ashrrev_i32_e32 v22, 31, v17
	v_add3_u32 v10, v10, v21, v16
	v_ashrrev_i32_e32 v8, 31, v7
	v_mad_u64_u32 v[37:38], null, s14, v31, s[14:15]
	v_mov_b32_e32 v1, v6
	v_lshlrev_b64 v[9:10], 4, v[9:10]
	v_ashrrev_i32_e32 v12, 31, v11
	v_mul_lo_u32 v28, s15, v17
	v_mad_u64_u32 v[16:17], null, s14, v17, 0
	v_mad_u64_u32 v[13:14], null, s15, v13, v[1:2]
	;; [unrolled: 1-line block ×3, first 2 shown]
	v_add_co_u32 v1, vcc_lo, v9, v53
	v_add_co_ci_u32_e64 v21, null, 0, v10, vcc_lo
	v_mov_b32_e32 v6, v13
	v_mul_lo_u32 v29, s14, v22
	v_mov_b32_e32 v13, v15
	v_lshlrev_b64 v[47:48], 4, v[7:8]
	v_lshlrev_b64 v[49:50], 4, v[11:12]
	;; [unrolled: 1-line block ×4, first 2 shown]
	v_mad_u64_u32 v[9:10], null, s15, v27, v[13:14]
	v_add3_u32 v17, v17, v29, v28
	v_cmp_gt_i32_e64 s2, s9, v19
	v_add_co_u32 v22, vcc_lo, v5, v47
	v_add_co_ci_u32_e64 v23, null, v6, v48, vcc_lo
	v_mov_b32_e32 v15, v9
	v_mov_b32_e32 v9, v38
	v_add_co_u32 v27, vcc_lo, v5, v49
	v_add_co_ci_u32_e64 v28, null, v6, v50, vcc_lo
	v_mad_u64_u32 v[9:10], null, s15, v31, v[9:10]
	v_lshlrev_b64 v[16:17], 4, v[16:17]
	v_add_co_u32 v29, vcc_lo, v5, v3
	v_add_co_ci_u32_e64 v30, null, v6, v4, vcc_lo
	v_lshlrev_b64 v[5:6], 4, v[14:15]
	v_add_co_u32 v31, vcc_lo, v16, v53
	v_mov_b32_e32 v38, v9
	v_mul_lo_u32 v15, s14, v12
	v_mul_lo_u32 v16, s15, v11
	v_mad_u64_u32 v[9:10], null, s14, v39, 0
	v_mad_u64_u32 v[11:12], null, s14, v11, 0
	v_add_co_ci_u32_e64 v32, null, 0, v17, vcc_lo
	v_add_co_u32 v33, vcc_lo, v5, v47
	v_add_co_ci_u32_e64 v34, null, v6, v48, vcc_lo
	v_add_co_u32 v35, vcc_lo, v5, v49
	v_add_co_ci_u32_e64 v36, null, v6, v50, vcc_lo
	v_lshlrev_b64 v[13:14], 4, v[37:38]
	v_add_co_u32 v37, vcc_lo, v5, v3
	v_add_co_ci_u32_e64 v38, null, v6, v4, vcc_lo
	v_mad_u64_u32 v[5:6], null, s15, v39, v[10:11]
	v_add3_u32 v12, v12, v15, v16
	v_add_co_u32 v39, vcc_lo, v13, v47
	v_add_co_ci_u32_e64 v40, null, v14, v48, vcc_lo
	v_lshlrev_b64 v[11:12], 4, v[11:12]
	v_mov_b32_e32 v10, v5
	v_add_co_u32 v41, vcc_lo, v13, v49
	v_add_co_ci_u32_e64 v42, null, v14, v50, vcc_lo
	v_lshlrev_b64 v[5:6], 6, v[9:10]
	v_mul_lo_u32 v9, s14, v8
	v_mul_lo_u32 v10, s15, v7
	v_mad_u64_u32 v[7:8], null, s14, v7, 0
	v_add_co_u32 v43, vcc_lo, v11, v53
	v_add_co_ci_u32_e64 v44, null, 0, v12, vcc_lo
	v_add_co_u32 v45, vcc_lo, v13, v3
	v_add3_u32 v8, v8, v9, v10
	v_add_co_ci_u32_e64 v46, null, v14, v4, vcc_lo
	v_add_co_u32 v47, vcc_lo, v5, v47
	v_lshlrev_b64 v[7:8], 4, v[7:8]
	v_add_co_ci_u32_e64 v48, null, v6, v48, vcc_lo
	v_add_co_u32 v49, vcc_lo, v5, v49
	v_add_co_ci_u32_e64 v50, null, v6, v50, vcc_lo
	v_add_co_u32 v51, vcc_lo, v5, v3
	v_add_co_ci_u32_e64 v52, null, v6, v4, vcc_lo
	v_add_co_u32 v53, vcc_lo, v7, v53
	v_cmp_gt_i32_e64 s3, s9, v18
	v_add_co_ci_u32_e64 v54, null, 0, v8, vcc_lo
	v_mov_b32_e32 v3, v2
	v_mov_b32_e32 v4, v2
	;; [unrolled: 1-line block ×7, first 2 shown]
	s_cmp_lg_u32 s8, 1
	s_cselect_b32 s23, -1, 0
	s_lshl_b64 s[18:19], s[14:15], 10
	s_branch .LBB22_4
.LBB22_2:                               ;   in Loop: Header=BB22_4 Depth=1
	v_mov_b32_e32 v2, v10
	v_mov_b32_e32 v3, v11
	v_mov_b32_e32 v4, v12
	v_mov_b32_e32 v5, v13
	v_mov_b32_e32 v6, v14
	v_mov_b32_e32 v7, v15
	v_mov_b32_e32 v8, v16
	v_mov_b32_e32 v9, v17
.LBB22_3:                               ;   in Loop: Header=BB22_4 Depth=1
	s_or_b32 exec_lo, exec_lo, s24
	v_add_co_u32 v1, vcc_lo, 0x400, v1
	v_add_co_ci_u32_e64 v21, null, 0, v21, vcc_lo
	v_add_co_u32 v22, vcc_lo, v22, s18
	v_add_co_ci_u32_e64 v23, null, s19, v23, vcc_lo
	;; [unrolled: 2-line block ×12, first 2 shown]
	v_add_co_u32 v47, vcc_lo, v47, s18
	v_add_nc_u32_e32 v0, 64, v0
	v_add_co_ci_u32_e64 v48, null, s19, v48, vcc_lo
	v_add_co_u32 v49, vcc_lo, v49, s18
	v_add_co_ci_u32_e64 v50, null, s19, v50, vcc_lo
	v_add_co_u32 v51, vcc_lo, v51, s18
	v_add_co_ci_u32_e64 v52, null, s19, v52, vcc_lo
	v_cmp_le_i32_e32 vcc_lo, s20, v0
	v_add_co_u32 v53, s4, 0x400, v53
	v_add_co_ci_u32_e64 v54, null, 0, v54, s4
	s_or_b32 s22, vcc_lo, s22
	s_andn2_b32 exec_lo, exec_lo, s22
	s_cbranch_execz .LBB22_27
.LBB22_4:                               ; =>This Inner Loop Header: Depth=1
	s_and_saveexec_b32 s24, s0
	s_cbranch_execnz .LBB22_8
; %bb.5:                                ;   in Loop: Header=BB22_4 Depth=1
	s_or_b32 exec_lo, exec_lo, s24
	s_and_saveexec_b32 s24, s1
	s_cbranch_execnz .LBB22_13
.LBB22_6:                               ;   in Loop: Header=BB22_4 Depth=1
	s_or_b32 exec_lo, exec_lo, s24
	s_and_saveexec_b32 s24, s2
	s_cbranch_execnz .LBB22_18
.LBB22_7:                               ;   in Loop: Header=BB22_4 Depth=1
	s_or_b32 exec_lo, exec_lo, s24
	s_and_saveexec_b32 s24, s3
	s_cbranch_execz .LBB22_3
	s_branch .LBB22_23
.LBB22_8:                               ;   in Loop: Header=BB22_4 Depth=1
	s_andn2_b32 vcc_lo, exec_lo, s23
	s_mov_b32 s4, -1
                                        ; implicit-def: $vgpr10_vgpr11_vgpr12_vgpr13_vgpr14_vgpr15_vgpr16_vgpr17
	s_cbranch_vccnz .LBB22_10
; %bb.9:                                ;   in Loop: Header=BB22_4 Depth=1
	v_add_co_u32 v59, vcc_lo, s12, v1
	v_add_co_ci_u32_e64 v60, null, s13, v21, vcc_lo
	s_clause 0x3
	global_load_dwordx4 v[10:13], v[59:60], off
	global_load_dwordx4 v[14:17], v[59:60], off offset:16
	global_load_dwordx4 v[55:58], v[59:60], off offset:32
	;; [unrolled: 1-line block ×3, first 2 shown]
	s_waitcnt vmcnt(3)
	v_cmp_neq_f64_e32 vcc_lo, 0, v[10:11]
	v_cmp_neq_f64_e64 s4, 0, v[12:13]
	s_waitcnt vmcnt(2)
	v_cmp_neq_f64_e64 s5, 0, v[14:15]
	v_cmp_neq_f64_e64 s6, 0, v[16:17]
	v_add_co_u32 v10, s7, v2, 1
	v_add_co_ci_u32_e64 v11, null, 0, v3, s7
	v_mov_b32_e32 v14, v6
	v_mov_b32_e32 v15, v7
	;; [unrolled: 1-line block ×3, first 2 shown]
	s_or_b32 vcc_lo, vcc_lo, s4
	s_waitcnt vmcnt(1)
	v_cmp_neq_f64_e64 s4, 0, v[57:58]
	v_cndmask_b32_e32 v11, v3, v11, vcc_lo
	v_cndmask_b32_e32 v10, v2, v10, vcc_lo
	v_cmp_neq_f64_e32 vcc_lo, 0, v[55:56]
	s_or_b32 s5, s5, s6
	s_waitcnt vmcnt(0)
	v_cmp_neq_f64_e64 s6, 0, v[61:62]
	v_add_co_u32 v12, s7, v10, 1
	v_add_co_ci_u32_e64 v13, null, 0, v11, s7
	v_cndmask_b32_e64 v10, v10, v12, s5
	v_cndmask_b32_e64 v11, v11, v13, s5
	v_cmp_neq_f64_e64 s5, 0, v[59:60]
	v_add_co_u32 v12, s7, v10, 1
	v_add_co_ci_u32_e64 v13, null, 0, v11, s7
	s_or_b32 vcc_lo, vcc_lo, s4
	s_mov_b32 s4, 0
	v_cndmask_b32_e32 v10, v10, v12, vcc_lo
	v_cndmask_b32_e32 v11, v11, v13, vcc_lo
	v_mov_b32_e32 v12, v4
	v_mov_b32_e32 v13, v5
	v_add_co_u32 v17, vcc_lo, v10, 1
	v_add_co_ci_u32_e64 v55, null, 0, v11, vcc_lo
	s_or_b32 vcc_lo, s5, s6
	v_cndmask_b32_e32 v11, v11, v55, vcc_lo
	v_cndmask_b32_e32 v10, v10, v17, vcc_lo
	v_mov_b32_e32 v17, v9
.LBB22_10:                              ;   in Loop: Header=BB22_4 Depth=1
	s_andn2_b32 vcc_lo, exec_lo, s4
	s_cbranch_vccnz .LBB22_12
; %bb.11:                               ;   in Loop: Header=BB22_4 Depth=1
	v_add_co_u32 v10, vcc_lo, s12, v51
	v_add_co_ci_u32_e64 v11, null, s13, v52, vcc_lo
	v_add_co_u32 v14, vcc_lo, s12, v45
	v_add_co_ci_u32_e64 v15, null, s13, v46, vcc_lo
	global_load_dwordx4 v[10:13], v[10:11], off
	v_add_co_u32 v55, vcc_lo, s12, v37
	global_load_dwordx4 v[14:17], v[14:15], off
	v_add_co_ci_u32_e64 v56, null, s13, v38, vcc_lo
	v_add_co_u32 v59, vcc_lo, s12, v29
	v_add_co_ci_u32_e64 v60, null, s13, v30, vcc_lo
	s_clause 0x1
	global_load_dwordx4 v[55:58], v[55:56], off
	global_load_dwordx4 v[59:62], v[59:60], off
	s_waitcnt vmcnt(3)
	v_cmp_neq_f64_e32 vcc_lo, 0, v[10:11]
	v_cmp_neq_f64_e64 s4, 0, v[12:13]
	v_add_co_u32 v10, s7, v2, 1
	s_waitcnt vmcnt(2)
	v_cmp_neq_f64_e64 s5, 0, v[14:15]
	v_cmp_neq_f64_e64 s6, 0, v[16:17]
	v_add_co_ci_u32_e64 v11, null, 0, v3, s7
	s_or_b32 vcc_lo, vcc_lo, s4
	s_waitcnt vmcnt(1)
	v_cmp_neq_f64_e64 s4, 0, v[57:58]
	v_cndmask_b32_e32 v3, v3, v11, vcc_lo
	v_cndmask_b32_e32 v2, v2, v10, vcc_lo
	v_cmp_neq_f64_e32 vcc_lo, 0, v[55:56]
	s_or_b32 s5, s5, s6
	s_waitcnt vmcnt(0)
	v_cmp_neq_f64_e64 s6, 0, v[61:62]
	v_add_co_u32 v10, s7, v2, 1
	v_add_co_ci_u32_e64 v11, null, 0, v3, s7
	v_cndmask_b32_e64 v2, v2, v10, s5
	v_cndmask_b32_e64 v3, v3, v11, s5
	v_cmp_neq_f64_e64 s5, 0, v[59:60]
	v_add_co_u32 v10, s7, v2, 1
	v_add_co_ci_u32_e64 v11, null, 0, v3, s7
	s_or_b32 vcc_lo, vcc_lo, s4
	v_cndmask_b32_e32 v2, v2, v10, vcc_lo
	v_cndmask_b32_e32 v3, v3, v11, vcc_lo
	v_add_co_u32 v10, vcc_lo, v2, 1
	v_add_co_ci_u32_e64 v11, null, 0, v3, vcc_lo
	s_or_b32 vcc_lo, s5, s6
	v_cndmask_b32_e32 v3, v3, v11, vcc_lo
	v_cndmask_b32_e32 v2, v2, v10, vcc_lo
	v_mov_b32_e32 v17, v9
	v_mov_b32_e32 v16, v8
	;; [unrolled: 1-line block ×8, first 2 shown]
.LBB22_12:                              ;   in Loop: Header=BB22_4 Depth=1
	v_mov_b32_e32 v2, v10
	v_mov_b32_e32 v3, v11
	;; [unrolled: 1-line block ×8, first 2 shown]
	s_or_b32 exec_lo, exec_lo, s24
	s_and_saveexec_b32 s24, s1
	s_cbranch_execz .LBB22_6
.LBB22_13:                              ;   in Loop: Header=BB22_4 Depth=1
	s_andn2_b32 vcc_lo, exec_lo, s23
	s_mov_b32 s4, -1
                                        ; implicit-def: $vgpr10_vgpr11_vgpr12_vgpr13_vgpr14_vgpr15_vgpr16_vgpr17
	s_cbranch_vccnz .LBB22_15
; %bb.14:                               ;   in Loop: Header=BB22_4 Depth=1
	v_add_co_u32 v59, vcc_lo, s12, v31
	v_add_co_ci_u32_e64 v60, null, s13, v32, vcc_lo
	s_clause 0x3
	global_load_dwordx4 v[10:13], v[59:60], off
	global_load_dwordx4 v[14:17], v[59:60], off offset:16
	global_load_dwordx4 v[55:58], v[59:60], off offset:32
	;; [unrolled: 1-line block ×3, first 2 shown]
	s_waitcnt vmcnt(3)
	v_cmp_neq_f64_e32 vcc_lo, 0, v[10:11]
	v_cmp_neq_f64_e64 s4, 0, v[12:13]
	s_waitcnt vmcnt(2)
	v_cmp_neq_f64_e64 s5, 0, v[14:15]
	v_cmp_neq_f64_e64 s6, 0, v[16:17]
	v_add_co_u32 v10, s7, v4, 1
	v_add_co_ci_u32_e64 v11, null, 0, v5, s7
	v_mov_b32_e32 v14, v6
	v_mov_b32_e32 v15, v7
	v_mov_b32_e32 v16, v8
	s_or_b32 vcc_lo, vcc_lo, s4
	s_waitcnt vmcnt(1)
	v_cmp_neq_f64_e64 s4, 0, v[57:58]
	v_cndmask_b32_e32 v11, v5, v11, vcc_lo
	v_cndmask_b32_e32 v10, v4, v10, vcc_lo
	v_cmp_neq_f64_e32 vcc_lo, 0, v[55:56]
	s_or_b32 s5, s5, s6
	s_waitcnt vmcnt(0)
	v_cmp_neq_f64_e64 s6, 0, v[61:62]
	v_add_co_u32 v12, s7, v10, 1
	v_add_co_ci_u32_e64 v13, null, 0, v11, s7
	v_cndmask_b32_e64 v10, v10, v12, s5
	v_cndmask_b32_e64 v11, v11, v13, s5
	v_cmp_neq_f64_e64 s5, 0, v[59:60]
	v_add_co_u32 v12, s7, v10, 1
	v_add_co_ci_u32_e64 v13, null, 0, v11, s7
	s_or_b32 vcc_lo, vcc_lo, s4
	s_mov_b32 s4, 0
	v_cndmask_b32_e32 v12, v10, v12, vcc_lo
	v_cndmask_b32_e32 v13, v11, v13, vcc_lo
	v_mov_b32_e32 v10, v2
	v_mov_b32_e32 v11, v3
	v_add_co_u32 v17, vcc_lo, v12, 1
	v_add_co_ci_u32_e64 v55, null, 0, v13, vcc_lo
	s_or_b32 vcc_lo, s5, s6
	v_cndmask_b32_e32 v13, v13, v55, vcc_lo
	v_cndmask_b32_e32 v12, v12, v17, vcc_lo
	v_mov_b32_e32 v17, v9
.LBB22_15:                              ;   in Loop: Header=BB22_4 Depth=1
	s_andn2_b32 vcc_lo, exec_lo, s4
	s_cbranch_vccnz .LBB22_17
; %bb.16:                               ;   in Loop: Header=BB22_4 Depth=1
	v_add_co_u32 v10, vcc_lo, s12, v51
	v_add_co_ci_u32_e64 v11, null, s13, v52, vcc_lo
	v_add_co_u32 v14, vcc_lo, s12, v45
	v_add_co_ci_u32_e64 v15, null, s13, v46, vcc_lo
	global_load_dwordx4 v[10:13], v[10:11], off offset:1024
	v_add_co_u32 v55, vcc_lo, s12, v37
	global_load_dwordx4 v[14:17], v[14:15], off offset:1024
	v_add_co_ci_u32_e64 v56, null, s13, v38, vcc_lo
	v_add_co_u32 v59, vcc_lo, s12, v29
	v_add_co_ci_u32_e64 v60, null, s13, v30, vcc_lo
	s_clause 0x1
	global_load_dwordx4 v[55:58], v[55:56], off offset:1024
	global_load_dwordx4 v[59:62], v[59:60], off offset:1024
	s_waitcnt vmcnt(3)
	v_cmp_neq_f64_e32 vcc_lo, 0, v[10:11]
	v_cmp_neq_f64_e64 s4, 0, v[12:13]
	v_add_co_u32 v10, s7, v4, 1
	s_waitcnt vmcnt(2)
	v_cmp_neq_f64_e64 s5, 0, v[14:15]
	v_cmp_neq_f64_e64 s6, 0, v[16:17]
	v_add_co_ci_u32_e64 v11, null, 0, v5, s7
	s_or_b32 vcc_lo, vcc_lo, s4
	s_waitcnt vmcnt(1)
	v_cmp_neq_f64_e64 s4, 0, v[57:58]
	v_cndmask_b32_e32 v5, v5, v11, vcc_lo
	v_cndmask_b32_e32 v4, v4, v10, vcc_lo
	v_cmp_neq_f64_e32 vcc_lo, 0, v[55:56]
	s_or_b32 s5, s5, s6
	s_waitcnt vmcnt(0)
	v_cmp_neq_f64_e64 s6, 0, v[61:62]
	v_add_co_u32 v10, s7, v4, 1
	v_add_co_ci_u32_e64 v11, null, 0, v5, s7
	v_cndmask_b32_e64 v4, v4, v10, s5
	v_cndmask_b32_e64 v5, v5, v11, s5
	v_cmp_neq_f64_e64 s5, 0, v[59:60]
	v_add_co_u32 v10, s7, v4, 1
	v_add_co_ci_u32_e64 v11, null, 0, v5, s7
	s_or_b32 vcc_lo, vcc_lo, s4
	v_cndmask_b32_e32 v4, v4, v10, vcc_lo
	v_cndmask_b32_e32 v5, v5, v11, vcc_lo
	v_add_co_u32 v10, vcc_lo, v4, 1
	v_add_co_ci_u32_e64 v11, null, 0, v5, vcc_lo
	s_or_b32 vcc_lo, s5, s6
	v_cndmask_b32_e32 v5, v5, v11, vcc_lo
	v_cndmask_b32_e32 v4, v4, v10, vcc_lo
	v_mov_b32_e32 v17, v9
	v_mov_b32_e32 v16, v8
	;; [unrolled: 1-line block ×8, first 2 shown]
.LBB22_17:                              ;   in Loop: Header=BB22_4 Depth=1
	v_mov_b32_e32 v2, v10
	v_mov_b32_e32 v3, v11
	;; [unrolled: 1-line block ×8, first 2 shown]
	s_or_b32 exec_lo, exec_lo, s24
	s_and_saveexec_b32 s24, s2
	s_cbranch_execz .LBB22_7
.LBB22_18:                              ;   in Loop: Header=BB22_4 Depth=1
	s_andn2_b32 vcc_lo, exec_lo, s23
	s_mov_b32 s4, -1
                                        ; implicit-def: $vgpr10_vgpr11_vgpr12_vgpr13_vgpr14_vgpr15_vgpr16_vgpr17
	s_cbranch_vccnz .LBB22_20
; %bb.19:                               ;   in Loop: Header=BB22_4 Depth=1
	v_add_co_u32 v59, vcc_lo, s12, v43
	v_add_co_ci_u32_e64 v60, null, s13, v44, vcc_lo
	s_clause 0x3
	global_load_dwordx4 v[10:13], v[59:60], off
	global_load_dwordx4 v[14:17], v[59:60], off offset:16
	global_load_dwordx4 v[55:58], v[59:60], off offset:32
	global_load_dwordx4 v[59:62], v[59:60], off offset:48
	s_waitcnt vmcnt(3)
	v_cmp_neq_f64_e32 vcc_lo, 0, v[10:11]
	v_cmp_neq_f64_e64 s4, 0, v[12:13]
	s_waitcnt vmcnt(2)
	v_cmp_neq_f64_e64 s5, 0, v[14:15]
	v_cmp_neq_f64_e64 s6, 0, v[16:17]
	v_add_co_u32 v10, s7, v6, 1
	v_add_co_ci_u32_e64 v11, null, 0, v7, s7
	v_mov_b32_e32 v16, v8
	s_or_b32 vcc_lo, vcc_lo, s4
	s_waitcnt vmcnt(1)
	v_cmp_neq_f64_e64 s4, 0, v[57:58]
	v_cndmask_b32_e32 v11, v7, v11, vcc_lo
	v_cndmask_b32_e32 v10, v6, v10, vcc_lo
	v_cmp_neq_f64_e32 vcc_lo, 0, v[55:56]
	s_or_b32 s5, s5, s6
	s_waitcnt vmcnt(0)
	v_cmp_neq_f64_e64 s6, 0, v[61:62]
	v_add_co_u32 v12, s7, v10, 1
	v_add_co_ci_u32_e64 v13, null, 0, v11, s7
	v_cndmask_b32_e64 v10, v10, v12, s5
	v_cndmask_b32_e64 v11, v11, v13, s5
	v_cmp_neq_f64_e64 s5, 0, v[59:60]
	v_add_co_u32 v12, s7, v10, 1
	v_add_co_ci_u32_e64 v13, null, 0, v11, s7
	s_or_b32 vcc_lo, vcc_lo, s4
	s_mov_b32 s4, 0
	v_cndmask_b32_e32 v17, v10, v12, vcc_lo
	v_cndmask_b32_e32 v14, v11, v13, vcc_lo
	v_mov_b32_e32 v10, v2
	v_mov_b32_e32 v11, v3
	v_mov_b32_e32 v12, v4
	v_add_co_u32 v55, vcc_lo, v17, 1
	v_add_co_ci_u32_e64 v15, null, 0, v14, vcc_lo
	v_mov_b32_e32 v13, v5
	s_or_b32 vcc_lo, s5, s6
	v_cndmask_b32_e32 v15, v14, v15, vcc_lo
	v_cndmask_b32_e32 v14, v17, v55, vcc_lo
	v_mov_b32_e32 v17, v9
.LBB22_20:                              ;   in Loop: Header=BB22_4 Depth=1
	s_andn2_b32 vcc_lo, exec_lo, s4
	s_cbranch_vccnz .LBB22_22
; %bb.21:                               ;   in Loop: Header=BB22_4 Depth=1
	v_add_co_u32 v10, vcc_lo, s12, v49
	v_add_co_ci_u32_e64 v11, null, s13, v50, vcc_lo
	v_add_co_u32 v14, vcc_lo, s12, v41
	v_add_co_ci_u32_e64 v15, null, s13, v42, vcc_lo
	global_load_dwordx4 v[10:13], v[10:11], off
	v_add_co_u32 v55, vcc_lo, s12, v35
	global_load_dwordx4 v[14:17], v[14:15], off
	v_add_co_ci_u32_e64 v56, null, s13, v36, vcc_lo
	v_add_co_u32 v59, vcc_lo, s12, v27
	v_add_co_ci_u32_e64 v60, null, s13, v28, vcc_lo
	s_clause 0x1
	global_load_dwordx4 v[55:58], v[55:56], off
	global_load_dwordx4 v[59:62], v[59:60], off
	s_waitcnt vmcnt(3)
	v_cmp_neq_f64_e32 vcc_lo, 0, v[10:11]
	v_cmp_neq_f64_e64 s4, 0, v[12:13]
	v_add_co_u32 v10, s7, v6, 1
	s_waitcnt vmcnt(2)
	v_cmp_neq_f64_e64 s5, 0, v[14:15]
	v_cmp_neq_f64_e64 s6, 0, v[16:17]
	v_add_co_ci_u32_e64 v11, null, 0, v7, s7
	s_or_b32 vcc_lo, vcc_lo, s4
	s_waitcnt vmcnt(1)
	v_cmp_neq_f64_e64 s4, 0, v[57:58]
	v_cndmask_b32_e32 v7, v7, v11, vcc_lo
	v_cndmask_b32_e32 v6, v6, v10, vcc_lo
	v_cmp_neq_f64_e32 vcc_lo, 0, v[55:56]
	s_or_b32 s5, s5, s6
	s_waitcnt vmcnt(0)
	v_cmp_neq_f64_e64 s6, 0, v[61:62]
	v_add_co_u32 v10, s7, v6, 1
	v_add_co_ci_u32_e64 v11, null, 0, v7, s7
	v_cndmask_b32_e64 v6, v6, v10, s5
	v_cndmask_b32_e64 v7, v7, v11, s5
	v_cmp_neq_f64_e64 s5, 0, v[59:60]
	v_add_co_u32 v10, s7, v6, 1
	v_add_co_ci_u32_e64 v11, null, 0, v7, s7
	s_or_b32 vcc_lo, vcc_lo, s4
	v_cndmask_b32_e32 v6, v6, v10, vcc_lo
	v_cndmask_b32_e32 v7, v7, v11, vcc_lo
	v_add_co_u32 v10, vcc_lo, v6, 1
	v_add_co_ci_u32_e64 v11, null, 0, v7, vcc_lo
	s_or_b32 vcc_lo, s5, s6
	v_cndmask_b32_e32 v7, v7, v11, vcc_lo
	v_cndmask_b32_e32 v6, v6, v10, vcc_lo
	v_mov_b32_e32 v17, v9
	v_mov_b32_e32 v16, v8
	;; [unrolled: 1-line block ×8, first 2 shown]
.LBB22_22:                              ;   in Loop: Header=BB22_4 Depth=1
	v_mov_b32_e32 v2, v10
	v_mov_b32_e32 v3, v11
	;; [unrolled: 1-line block ×8, first 2 shown]
	s_or_b32 exec_lo, exec_lo, s24
	s_and_saveexec_b32 s24, s3
	s_cbranch_execz .LBB22_3
.LBB22_23:                              ;   in Loop: Header=BB22_4 Depth=1
	s_andn2_b32 vcc_lo, exec_lo, s23
	s_mov_b32 s4, -1
                                        ; implicit-def: $vgpr10_vgpr11_vgpr12_vgpr13_vgpr14_vgpr15_vgpr16_vgpr17
	s_cbranch_vccnz .LBB22_25
; %bb.24:                               ;   in Loop: Header=BB22_4 Depth=1
	v_add_co_u32 v59, vcc_lo, s12, v53
	v_add_co_ci_u32_e64 v60, null, s13, v54, vcc_lo
	s_clause 0x3
	global_load_dwordx4 v[10:13], v[59:60], off
	global_load_dwordx4 v[14:17], v[59:60], off offset:16
	global_load_dwordx4 v[55:58], v[59:60], off offset:32
	;; [unrolled: 1-line block ×3, first 2 shown]
	s_waitcnt vmcnt(3)
	v_cmp_neq_f64_e32 vcc_lo, 0, v[10:11]
	v_cmp_neq_f64_e64 s4, 0, v[12:13]
	s_waitcnt vmcnt(2)
	v_cmp_neq_f64_e64 s5, 0, v[14:15]
	v_cmp_neq_f64_e64 s6, 0, v[16:17]
	v_add_co_u32 v10, s7, v8, 1
	v_add_co_ci_u32_e64 v11, null, 0, v9, s7
	v_mov_b32_e32 v14, v6
	s_or_b32 vcc_lo, vcc_lo, s4
	s_waitcnt vmcnt(1)
	v_cmp_neq_f64_e64 s4, 0, v[57:58]
	v_cndmask_b32_e32 v11, v9, v11, vcc_lo
	v_cndmask_b32_e32 v10, v8, v10, vcc_lo
	v_cmp_neq_f64_e32 vcc_lo, 0, v[55:56]
	s_or_b32 s5, s5, s6
	s_waitcnt vmcnt(0)
	v_cmp_neq_f64_e64 s6, 0, v[61:62]
	v_add_co_u32 v12, s7, v10, 1
	v_add_co_ci_u32_e64 v13, null, 0, v11, s7
	v_cndmask_b32_e64 v10, v10, v12, s5
	v_cndmask_b32_e64 v11, v11, v13, s5
	v_cmp_neq_f64_e64 s5, 0, v[59:60]
	v_add_co_u32 v12, s7, v10, 1
	v_add_co_ci_u32_e64 v13, null, 0, v11, s7
	s_or_b32 vcc_lo, vcc_lo, s4
	s_mov_b32 s4, 0
	v_cndmask_b32_e32 v16, v10, v12, vcc_lo
	v_cndmask_b32_e32 v15, v11, v13, vcc_lo
	v_mov_b32_e32 v10, v2
	v_mov_b32_e32 v11, v3
	;; [unrolled: 1-line block ×3, first 2 shown]
	v_add_co_u32 v55, vcc_lo, v16, 1
	v_add_co_ci_u32_e64 v17, null, 0, v15, vcc_lo
	v_mov_b32_e32 v13, v5
	s_or_b32 vcc_lo, s5, s6
	v_cndmask_b32_e32 v17, v15, v17, vcc_lo
	v_cndmask_b32_e32 v16, v16, v55, vcc_lo
	v_mov_b32_e32 v15, v7
.LBB22_25:                              ;   in Loop: Header=BB22_4 Depth=1
	s_andn2_b32 vcc_lo, exec_lo, s4
	s_cbranch_vccnz .LBB22_2
; %bb.26:                               ;   in Loop: Header=BB22_4 Depth=1
	v_add_co_u32 v10, vcc_lo, s12, v47
	v_add_co_ci_u32_e64 v11, null, s13, v48, vcc_lo
	v_add_co_u32 v14, vcc_lo, s12, v39
	v_add_co_ci_u32_e64 v15, null, s13, v40, vcc_lo
	global_load_dwordx4 v[10:13], v[10:11], off
	v_add_co_u32 v55, vcc_lo, s12, v33
	global_load_dwordx4 v[14:17], v[14:15], off
	v_add_co_ci_u32_e64 v56, null, s13, v34, vcc_lo
	v_add_co_u32 v59, vcc_lo, s12, v22
	v_add_co_ci_u32_e64 v60, null, s13, v23, vcc_lo
	s_clause 0x1
	global_load_dwordx4 v[55:58], v[55:56], off
	global_load_dwordx4 v[59:62], v[59:60], off
	s_waitcnt vmcnt(3)
	v_cmp_neq_f64_e32 vcc_lo, 0, v[10:11]
	v_cmp_neq_f64_e64 s4, 0, v[12:13]
	v_add_co_u32 v10, s7, v8, 1
	s_waitcnt vmcnt(2)
	v_cmp_neq_f64_e64 s5, 0, v[14:15]
	v_cmp_neq_f64_e64 s6, 0, v[16:17]
	v_add_co_ci_u32_e64 v11, null, 0, v9, s7
	s_or_b32 vcc_lo, vcc_lo, s4
	s_waitcnt vmcnt(1)
	v_cmp_neq_f64_e64 s4, 0, v[57:58]
	v_cndmask_b32_e32 v9, v9, v11, vcc_lo
	v_cndmask_b32_e32 v8, v8, v10, vcc_lo
	v_cmp_neq_f64_e32 vcc_lo, 0, v[55:56]
	s_or_b32 s5, s5, s6
	s_waitcnt vmcnt(0)
	v_cmp_neq_f64_e64 s6, 0, v[61:62]
	v_add_co_u32 v10, s7, v8, 1
	v_add_co_ci_u32_e64 v11, null, 0, v9, s7
	v_cndmask_b32_e64 v8, v8, v10, s5
	v_cndmask_b32_e64 v9, v9, v11, s5
	v_cmp_neq_f64_e64 s5, 0, v[59:60]
	v_add_co_u32 v10, s7, v8, 1
	v_add_co_ci_u32_e64 v11, null, 0, v9, s7
	s_or_b32 vcc_lo, vcc_lo, s4
	v_cndmask_b32_e32 v8, v8, v10, vcc_lo
	v_cndmask_b32_e32 v9, v9, v11, vcc_lo
	v_add_co_u32 v10, vcc_lo, v8, 1
	v_add_co_ci_u32_e64 v11, null, 0, v9, vcc_lo
	s_or_b32 vcc_lo, s5, s6
	v_cndmask_b32_e32 v9, v9, v11, vcc_lo
	v_cndmask_b32_e32 v8, v8, v10, vcc_lo
	v_mov_b32_e32 v17, v9
	v_mov_b32_e32 v16, v8
	;; [unrolled: 1-line block ×8, first 2 shown]
	s_branch .LBB22_2
.LBB22_27:
	s_or_b32 exec_lo, exec_lo, s22
.LBB22_28:
	s_or_b32 exec_lo, exec_lo, s21
	s_sub_i32 s0, s10, s20
	s_cmp_lt_i32 s0, 1
	s_cbranch_scc1 .LBB22_126
; %bb.29:
	v_mov_b32_e32 v1, 0
	s_cmp_eq_u32 s8, 1
	v_ashrrev_i32_e32 v21, 31, v20
	s_cselect_b32 s2, -1, 0
	s_cmp_lg_u32 s8, 1
	v_lshlrev_b64 v[10:11], 4, v[0:1]
	s_cselect_b32 s1, -1, 0
	s_mov_b32 s3, exec_lo
	v_add_co_u32 v1, s0, s12, v10
	v_add_co_ci_u32_e64 v27, null, s13, v11, s0
	v_cmpx_gt_i32_e64 s9, v20
	s_cbranch_execnz .LBB22_33
; %bb.30:
	s_or_b32 exec_lo, exec_lo, s3
	s_mov_b32 s3, exec_lo
	v_cmpx_gt_i32_e64 s9, v26
	s_cbranch_execnz .LBB22_56
.LBB22_31:
	s_or_b32 exec_lo, exec_lo, s3
	s_mov_b32 s3, exec_lo
	v_cmpx_gt_i32_e64 s9, v19
	s_cbranch_execnz .LBB22_79
.LBB22_32:
	s_or_b32 exec_lo, exec_lo, s3
	s_mov_b32 s3, exec_lo
	v_cmpx_gt_i32_e64 s9, v18
	s_cbranch_execnz .LBB22_102
	s_branch .LBB22_125
.LBB22_33:
	v_mul_lo_u32 v12, s15, v20
	v_mul_lo_u32 v13, s14, v21
	v_mad_u64_u32 v[10:11], null, s14, v20, 0
	s_mov_b32 s4, exec_lo
	v_add3_u32 v11, v11, v13, v12
	v_lshlrev_b64 v[12:13], 4, v[20:21]
	v_lshlrev_b64 v[10:11], 4, v[10:11]
	v_add_co_u32 v28, vcc_lo, s12, v12
	v_add_co_ci_u32_e64 v29, null, s13, v13, vcc_lo
	v_add_co_u32 v22, vcc_lo, v1, v10
	v_add_co_ci_u32_e64 v23, null, v27, v11, vcc_lo
	v_cmpx_gt_i32_e64 s10, v0
	s_cbranch_execz .LBB22_37
; %bb.34:
	v_mov_b32_e32 v10, v22
	v_mov_b32_e32 v11, v23
	s_andn2_b32 vcc_lo, exec_lo, s2
	s_cbranch_vccnz .LBB22_36
; %bb.35:
	v_mad_u64_u32 v[10:11], null, s14, v0, 0
	v_mad_u64_u32 v[11:12], null, s15, v0, v[11:12]
	v_lshlrev_b64 v[10:11], 4, v[10:11]
	v_add_co_u32 v10, vcc_lo, v28, v10
	v_add_co_ci_u32_e64 v11, null, v29, v11, vcc_lo
.LBB22_36:
	global_load_dwordx4 v[10:13], v[10:11], off
	s_waitcnt vmcnt(0)
	v_cmp_neq_f64_e32 vcc_lo, 0, v[10:11]
	v_cmp_neq_f64_e64 s0, 0, v[12:13]
	s_or_b32 s0, vcc_lo, s0
	v_cndmask_b32_e64 v10, 0, 1, s0
	v_add_co_u32 v2, vcc_lo, v2, v10
	v_add_co_ci_u32_e64 v3, null, 0, v3, vcc_lo
.LBB22_37:
	s_or_b32 exec_lo, exec_lo, s4
	v_or_b32_e32 v30, 1, v0
	s_mov_b32 s4, exec_lo
	v_cmpx_gt_i32_e64 s10, v30
	s_cbranch_execz .LBB22_43
; %bb.38:
	s_andn2_b32 vcc_lo, exec_lo, s1
	s_cbranch_vccnz .LBB22_40
; %bb.39:
	global_load_dwordx4 v[10:13], v[22:23], off offset:16
	s_waitcnt vmcnt(0)
	v_cmp_neq_f64_e32 vcc_lo, 0, v[10:11]
	v_cmp_neq_f64_e64 s0, 0, v[12:13]
	s_or_b32 s0, vcc_lo, s0
	v_cndmask_b32_e64 v10, 0, 1, s0
	v_add_co_u32 v31, vcc_lo, v2, v10
	v_add_co_ci_u32_e64 v32, null, 0, v3, vcc_lo
	v_mov_b32_e32 v17, v9
	v_mov_b32_e32 v11, v3
	v_mov_b32_e32 v10, v2
	v_mov_b32_e32 v16, v8
	v_mov_b32_e32 v15, v7
	v_mov_b32_e32 v14, v6
	v_mov_b32_e32 v13, v5
	v_mov_b32_e32 v12, v4
	v_mov_b32_e32 v10, v31
	v_mov_b32_e32 v11, v32
	s_cbranch_execz .LBB22_41
	s_branch .LBB22_42
.LBB22_40:
                                        ; implicit-def: $vgpr10_vgpr11_vgpr12_vgpr13_vgpr14_vgpr15_vgpr16_vgpr17
.LBB22_41:
	v_mad_u64_u32 v[10:11], null, s14, v30, 0
	v_mad_u64_u32 v[11:12], null, s15, v30, v[11:12]
	v_lshlrev_b64 v[10:11], 4, v[10:11]
	v_add_co_u32 v10, vcc_lo, v28, v10
	v_add_co_ci_u32_e64 v11, null, v29, v11, vcc_lo
	global_load_dwordx4 v[10:13], v[10:11], off
	s_waitcnt vmcnt(0)
	v_cmp_neq_f64_e32 vcc_lo, 0, v[10:11]
	v_cmp_neq_f64_e64 s0, 0, v[12:13]
	s_or_b32 s0, vcc_lo, s0
	v_cndmask_b32_e64 v10, 0, 1, s0
	v_add_co_u32 v2, vcc_lo, v2, v10
	v_add_co_ci_u32_e64 v3, null, 0, v3, vcc_lo
	v_mov_b32_e32 v17, v9
	v_mov_b32_e32 v16, v8
	v_mov_b32_e32 v15, v7
	v_mov_b32_e32 v14, v6
	v_mov_b32_e32 v13, v5
	v_mov_b32_e32 v12, v4
	v_mov_b32_e32 v11, v3
	v_mov_b32_e32 v10, v2
.LBB22_42:
	v_mov_b32_e32 v2, v10
	v_mov_b32_e32 v3, v11
	v_mov_b32_e32 v4, v12
	v_mov_b32_e32 v5, v13
	v_mov_b32_e32 v6, v14
	v_mov_b32_e32 v7, v15
	v_mov_b32_e32 v8, v16
	v_mov_b32_e32 v9, v17
.LBB22_43:
	s_or_b32 exec_lo, exec_lo, s4
	v_or_b32_e32 v30, 2, v0
	s_mov_b32 s4, exec_lo
	v_cmpx_gt_i32_e64 s10, v30
	s_cbranch_execz .LBB22_49
; %bb.44:
	s_andn2_b32 vcc_lo, exec_lo, s1
	s_cbranch_vccnz .LBB22_46
; %bb.45:
	global_load_dwordx4 v[10:13], v[22:23], off offset:32
	s_waitcnt vmcnt(0)
	v_cmp_neq_f64_e32 vcc_lo, 0, v[10:11]
	v_cmp_neq_f64_e64 s0, 0, v[12:13]
	s_or_b32 s0, vcc_lo, s0
	v_cndmask_b32_e64 v10, 0, 1, s0
	v_add_co_u32 v31, vcc_lo, v2, v10
	v_add_co_ci_u32_e64 v32, null, 0, v3, vcc_lo
	v_mov_b32_e32 v17, v9
	v_mov_b32_e32 v11, v3
	v_mov_b32_e32 v10, v2
	v_mov_b32_e32 v16, v8
	v_mov_b32_e32 v15, v7
	v_mov_b32_e32 v14, v6
	v_mov_b32_e32 v13, v5
	v_mov_b32_e32 v12, v4
	v_mov_b32_e32 v10, v31
	v_mov_b32_e32 v11, v32
	s_cbranch_execz .LBB22_47
	s_branch .LBB22_48
.LBB22_46:
                                        ; implicit-def: $vgpr10_vgpr11_vgpr12_vgpr13_vgpr14_vgpr15_vgpr16_vgpr17
.LBB22_47:
	v_mad_u64_u32 v[10:11], null, s14, v30, 0
	v_mad_u64_u32 v[11:12], null, s15, v30, v[11:12]
	v_lshlrev_b64 v[10:11], 4, v[10:11]
	v_add_co_u32 v10, vcc_lo, v28, v10
	v_add_co_ci_u32_e64 v11, null, v29, v11, vcc_lo
	global_load_dwordx4 v[10:13], v[10:11], off
	s_waitcnt vmcnt(0)
	v_cmp_neq_f64_e32 vcc_lo, 0, v[10:11]
	v_cmp_neq_f64_e64 s0, 0, v[12:13]
	s_or_b32 s0, vcc_lo, s0
	v_cndmask_b32_e64 v10, 0, 1, s0
	v_add_co_u32 v2, vcc_lo, v2, v10
	v_add_co_ci_u32_e64 v3, null, 0, v3, vcc_lo
	v_mov_b32_e32 v17, v9
	v_mov_b32_e32 v16, v8
	v_mov_b32_e32 v15, v7
	v_mov_b32_e32 v14, v6
	v_mov_b32_e32 v13, v5
	v_mov_b32_e32 v12, v4
	v_mov_b32_e32 v11, v3
	v_mov_b32_e32 v10, v2
.LBB22_48:
	v_mov_b32_e32 v2, v10
	v_mov_b32_e32 v3, v11
	v_mov_b32_e32 v4, v12
	v_mov_b32_e32 v5, v13
	v_mov_b32_e32 v6, v14
	v_mov_b32_e32 v7, v15
	v_mov_b32_e32 v8, v16
	v_mov_b32_e32 v9, v17
.LBB22_49:
	;; [unrolled: 63-line block ×3, first 2 shown]
	s_or_b32 exec_lo, exec_lo, s4
	s_or_b32 exec_lo, exec_lo, s3
	s_mov_b32 s3, exec_lo
	v_cmpx_gt_i32_e64 s9, v26
	s_cbranch_execz .LBB22_31
.LBB22_56:
	v_ashrrev_i32_e32 v12, 31, v26
	v_mul_lo_u32 v13, s15, v26
	v_mad_u64_u32 v[10:11], null, s14, v26, 0
	s_mov_b32 s4, exec_lo
	v_mul_lo_u32 v12, s14, v12
	v_add3_u32 v11, v11, v12, v13
	v_lshlrev_b64 v[12:13], 4, v[20:21]
	v_lshlrev_b64 v[10:11], 4, v[10:11]
	v_add_co_u32 v22, vcc_lo, s12, v12
	v_add_co_ci_u32_e64 v23, null, s13, v13, vcc_lo
	v_add_co_u32 v20, vcc_lo, v1, v10
	v_add_co_ci_u32_e64 v21, null, v27, v11, vcc_lo
	v_cmpx_gt_i32_e64 s10, v0
	s_cbranch_execz .LBB22_60
; %bb.57:
	v_mov_b32_e32 v10, v20
	v_mov_b32_e32 v11, v21
	s_andn2_b32 vcc_lo, exec_lo, s2
	s_cbranch_vccnz .LBB22_59
; %bb.58:
	v_mad_u64_u32 v[10:11], null, s14, v0, 0
	v_mad_u64_u32 v[11:12], null, s15, v0, v[11:12]
	v_lshlrev_b64 v[10:11], 4, v[10:11]
	v_add_co_u32 v10, vcc_lo, v22, v10
	v_add_co_ci_u32_e64 v11, null, v23, v11, vcc_lo
	v_add_co_u32 v10, vcc_lo, 0x400, v10
	v_add_co_ci_u32_e64 v11, null, 0, v11, vcc_lo
.LBB22_59:
	global_load_dwordx4 v[10:13], v[10:11], off
	s_waitcnt vmcnt(0)
	v_cmp_neq_f64_e32 vcc_lo, 0, v[10:11]
	v_cmp_neq_f64_e64 s0, 0, v[12:13]
	s_or_b32 s0, vcc_lo, s0
	v_cndmask_b32_e64 v10, 0, 1, s0
	v_add_co_u32 v4, vcc_lo, v4, v10
	v_add_co_ci_u32_e64 v5, null, 0, v5, vcc_lo
.LBB22_60:
	s_or_b32 exec_lo, exec_lo, s4
	v_or_b32_e32 v26, 1, v0
	s_mov_b32 s4, exec_lo
	v_cmpx_gt_i32_e64 s10, v26
	s_cbranch_execz .LBB22_66
; %bb.61:
	s_andn2_b32 vcc_lo, exec_lo, s1
	s_cbranch_vccnz .LBB22_63
; %bb.62:
	global_load_dwordx4 v[10:13], v[20:21], off offset:16
	s_waitcnt vmcnt(0)
	v_cmp_neq_f64_e32 vcc_lo, 0, v[10:11]
	v_cmp_neq_f64_e64 s0, 0, v[12:13]
	s_or_b32 s0, vcc_lo, s0
	v_cndmask_b32_e64 v10, 0, 1, s0
	v_add_co_u32 v28, vcc_lo, v4, v10
	v_add_co_ci_u32_e64 v29, null, 0, v5, vcc_lo
	v_mov_b32_e32 v17, v9
	v_mov_b32_e32 v13, v5
	v_mov_b32_e32 v12, v4
	v_mov_b32_e32 v16, v8
	v_mov_b32_e32 v15, v7
	v_mov_b32_e32 v14, v6
	v_mov_b32_e32 v11, v3
	v_mov_b32_e32 v10, v2
	v_mov_b32_e32 v12, v28
	v_mov_b32_e32 v13, v29
	s_cbranch_execz .LBB22_64
	s_branch .LBB22_65
.LBB22_63:
                                        ; implicit-def: $vgpr10_vgpr11_vgpr12_vgpr13_vgpr14_vgpr15_vgpr16_vgpr17
.LBB22_64:
	v_mad_u64_u32 v[10:11], null, s14, v26, 0
	v_mad_u64_u32 v[11:12], null, s15, v26, v[11:12]
	v_lshlrev_b64 v[10:11], 4, v[10:11]
	v_add_co_u32 v10, vcc_lo, v22, v10
	v_add_co_ci_u32_e64 v11, null, v23, v11, vcc_lo
	global_load_dwordx4 v[10:13], v[10:11], off offset:1024
	s_waitcnt vmcnt(0)
	v_cmp_neq_f64_e32 vcc_lo, 0, v[10:11]
	v_cmp_neq_f64_e64 s0, 0, v[12:13]
	s_or_b32 s0, vcc_lo, s0
	v_cndmask_b32_e64 v10, 0, 1, s0
	v_add_co_u32 v4, vcc_lo, v4, v10
	v_add_co_ci_u32_e64 v5, null, 0, v5, vcc_lo
	v_mov_b32_e32 v17, v9
	v_mov_b32_e32 v16, v8
	v_mov_b32_e32 v15, v7
	v_mov_b32_e32 v14, v6
	v_mov_b32_e32 v13, v5
	v_mov_b32_e32 v12, v4
	v_mov_b32_e32 v11, v3
	v_mov_b32_e32 v10, v2
.LBB22_65:
	v_mov_b32_e32 v2, v10
	v_mov_b32_e32 v3, v11
	v_mov_b32_e32 v4, v12
	v_mov_b32_e32 v5, v13
	v_mov_b32_e32 v6, v14
	v_mov_b32_e32 v7, v15
	v_mov_b32_e32 v8, v16
	v_mov_b32_e32 v9, v17
.LBB22_66:
	s_or_b32 exec_lo, exec_lo, s4
	v_or_b32_e32 v26, 2, v0
	s_mov_b32 s4, exec_lo
	v_cmpx_gt_i32_e64 s10, v26
	s_cbranch_execz .LBB22_72
; %bb.67:
	s_andn2_b32 vcc_lo, exec_lo, s1
	s_cbranch_vccnz .LBB22_69
; %bb.68:
	global_load_dwordx4 v[10:13], v[20:21], off offset:32
	s_waitcnt vmcnt(0)
	v_cmp_neq_f64_e32 vcc_lo, 0, v[10:11]
	v_cmp_neq_f64_e64 s0, 0, v[12:13]
	s_or_b32 s0, vcc_lo, s0
	v_cndmask_b32_e64 v10, 0, 1, s0
	v_add_co_u32 v28, vcc_lo, v4, v10
	v_add_co_ci_u32_e64 v29, null, 0, v5, vcc_lo
	v_mov_b32_e32 v17, v9
	v_mov_b32_e32 v13, v5
	v_mov_b32_e32 v12, v4
	v_mov_b32_e32 v16, v8
	v_mov_b32_e32 v15, v7
	v_mov_b32_e32 v14, v6
	v_mov_b32_e32 v11, v3
	v_mov_b32_e32 v10, v2
	v_mov_b32_e32 v12, v28
	v_mov_b32_e32 v13, v29
	s_cbranch_execz .LBB22_70
	s_branch .LBB22_71
.LBB22_69:
                                        ; implicit-def: $vgpr10_vgpr11_vgpr12_vgpr13_vgpr14_vgpr15_vgpr16_vgpr17
.LBB22_70:
	v_mad_u64_u32 v[10:11], null, s14, v26, 0
	v_mad_u64_u32 v[11:12], null, s15, v26, v[11:12]
	v_lshlrev_b64 v[10:11], 4, v[10:11]
	v_add_co_u32 v10, vcc_lo, v22, v10
	v_add_co_ci_u32_e64 v11, null, v23, v11, vcc_lo
	global_load_dwordx4 v[10:13], v[10:11], off offset:1024
	s_waitcnt vmcnt(0)
	v_cmp_neq_f64_e32 vcc_lo, 0, v[10:11]
	v_cmp_neq_f64_e64 s0, 0, v[12:13]
	s_or_b32 s0, vcc_lo, s0
	v_cndmask_b32_e64 v10, 0, 1, s0
	v_add_co_u32 v4, vcc_lo, v4, v10
	v_add_co_ci_u32_e64 v5, null, 0, v5, vcc_lo
	v_mov_b32_e32 v17, v9
	v_mov_b32_e32 v16, v8
	v_mov_b32_e32 v15, v7
	v_mov_b32_e32 v14, v6
	v_mov_b32_e32 v13, v5
	v_mov_b32_e32 v12, v4
	v_mov_b32_e32 v11, v3
	v_mov_b32_e32 v10, v2
.LBB22_71:
	v_mov_b32_e32 v2, v10
	v_mov_b32_e32 v3, v11
	v_mov_b32_e32 v4, v12
	v_mov_b32_e32 v5, v13
	v_mov_b32_e32 v6, v14
	v_mov_b32_e32 v7, v15
	v_mov_b32_e32 v8, v16
	v_mov_b32_e32 v9, v17
.LBB22_72:
	;; [unrolled: 63-line block ×3, first 2 shown]
	s_or_b32 exec_lo, exec_lo, s4
	s_or_b32 exec_lo, exec_lo, s3
	s_mov_b32 s3, exec_lo
	v_cmpx_gt_i32_e64 s9, v19
	s_cbranch_execz .LBB22_32
.LBB22_79:
	v_ashrrev_i32_e32 v20, 31, v19
	v_mul_lo_u32 v12, s15, v19
	v_mad_u64_u32 v[10:11], null, s14, v19, 0
	s_mov_b32 s4, exec_lo
	v_mul_lo_u32 v13, s14, v20
	v_add3_u32 v11, v11, v13, v12
	v_lshlrev_b64 v[12:13], 4, v[19:20]
	v_lshlrev_b64 v[10:11], 4, v[10:11]
	v_add_co_u32 v21, vcc_lo, s12, v12
	v_add_co_ci_u32_e64 v22, null, s13, v13, vcc_lo
	v_add_co_u32 v19, vcc_lo, v1, v10
	v_add_co_ci_u32_e64 v20, null, v27, v11, vcc_lo
	v_cmpx_gt_i32_e64 s10, v0
	s_cbranch_execz .LBB22_83
; %bb.80:
	v_mov_b32_e32 v10, v19
	v_mov_b32_e32 v11, v20
	s_andn2_b32 vcc_lo, exec_lo, s2
	s_cbranch_vccnz .LBB22_82
; %bb.81:
	v_mad_u64_u32 v[10:11], null, s14, v0, 0
	v_mad_u64_u32 v[11:12], null, s15, v0, v[11:12]
	v_lshlrev_b64 v[10:11], 4, v[10:11]
	v_add_co_u32 v10, vcc_lo, v21, v10
	v_add_co_ci_u32_e64 v11, null, v22, v11, vcc_lo
.LBB22_82:
	global_load_dwordx4 v[10:13], v[10:11], off
	s_waitcnt vmcnt(0)
	v_cmp_neq_f64_e32 vcc_lo, 0, v[10:11]
	v_cmp_neq_f64_e64 s0, 0, v[12:13]
	s_or_b32 s0, vcc_lo, s0
	v_cndmask_b32_e64 v10, 0, 1, s0
	v_add_co_u32 v6, vcc_lo, v6, v10
	v_add_co_ci_u32_e64 v7, null, 0, v7, vcc_lo
.LBB22_83:
	s_or_b32 exec_lo, exec_lo, s4
	v_or_b32_e32 v23, 1, v0
	s_mov_b32 s4, exec_lo
	v_cmpx_gt_i32_e64 s10, v23
	s_cbranch_execz .LBB22_89
; %bb.84:
	s_andn2_b32 vcc_lo, exec_lo, s1
	s_cbranch_vccnz .LBB22_86
; %bb.85:
	global_load_dwordx4 v[10:13], v[19:20], off offset:16
	s_waitcnt vmcnt(0)
	v_cmp_neq_f64_e32 vcc_lo, 0, v[10:11]
	v_cmp_neq_f64_e64 s0, 0, v[12:13]
	s_or_b32 s0, vcc_lo, s0
	v_cndmask_b32_e64 v10, 0, 1, s0
	v_add_co_u32 v26, vcc_lo, v6, v10
	v_add_co_ci_u32_e64 v28, null, 0, v7, vcc_lo
	v_mov_b32_e32 v17, v9
	v_mov_b32_e32 v15, v7
	v_mov_b32_e32 v14, v6
	v_mov_b32_e32 v16, v8
	v_mov_b32_e32 v13, v5
	v_mov_b32_e32 v12, v4
	v_mov_b32_e32 v11, v3
	v_mov_b32_e32 v10, v2
	v_mov_b32_e32 v14, v26
	v_mov_b32_e32 v15, v28
	s_cbranch_execz .LBB22_87
	s_branch .LBB22_88
.LBB22_86:
                                        ; implicit-def: $vgpr10_vgpr11_vgpr12_vgpr13_vgpr14_vgpr15_vgpr16_vgpr17
.LBB22_87:
	v_mad_u64_u32 v[10:11], null, s14, v23, 0
	v_mad_u64_u32 v[11:12], null, s15, v23, v[11:12]
	v_lshlrev_b64 v[10:11], 4, v[10:11]
	v_add_co_u32 v10, vcc_lo, v21, v10
	v_add_co_ci_u32_e64 v11, null, v22, v11, vcc_lo
	global_load_dwordx4 v[10:13], v[10:11], off
	s_waitcnt vmcnt(0)
	v_cmp_neq_f64_e32 vcc_lo, 0, v[10:11]
	v_cmp_neq_f64_e64 s0, 0, v[12:13]
	s_or_b32 s0, vcc_lo, s0
	v_cndmask_b32_e64 v10, 0, 1, s0
	v_add_co_u32 v6, vcc_lo, v6, v10
	v_add_co_ci_u32_e64 v7, null, 0, v7, vcc_lo
	v_mov_b32_e32 v17, v9
	v_mov_b32_e32 v16, v8
	v_mov_b32_e32 v14, v6
	v_mov_b32_e32 v15, v7
	v_mov_b32_e32 v13, v5
	v_mov_b32_e32 v12, v4
	v_mov_b32_e32 v11, v3
	v_mov_b32_e32 v10, v2
.LBB22_88:
	v_mov_b32_e32 v2, v10
	v_mov_b32_e32 v3, v11
	v_mov_b32_e32 v4, v12
	v_mov_b32_e32 v5, v13
	v_mov_b32_e32 v6, v14
	v_mov_b32_e32 v7, v15
	v_mov_b32_e32 v8, v16
	v_mov_b32_e32 v9, v17
.LBB22_89:
	s_or_b32 exec_lo, exec_lo, s4
	v_or_b32_e32 v23, 2, v0
	s_mov_b32 s4, exec_lo
	v_cmpx_gt_i32_e64 s10, v23
	s_cbranch_execz .LBB22_95
; %bb.90:
	s_andn2_b32 vcc_lo, exec_lo, s1
	s_cbranch_vccnz .LBB22_92
; %bb.91:
	global_load_dwordx4 v[10:13], v[19:20], off offset:32
	s_waitcnt vmcnt(0)
	v_cmp_neq_f64_e32 vcc_lo, 0, v[10:11]
	v_cmp_neq_f64_e64 s0, 0, v[12:13]
	s_or_b32 s0, vcc_lo, s0
	v_cndmask_b32_e64 v10, 0, 1, s0
	v_add_co_u32 v26, vcc_lo, v6, v10
	v_add_co_ci_u32_e64 v28, null, 0, v7, vcc_lo
	v_mov_b32_e32 v17, v9
	v_mov_b32_e32 v15, v7
	v_mov_b32_e32 v14, v6
	v_mov_b32_e32 v16, v8
	v_mov_b32_e32 v13, v5
	v_mov_b32_e32 v12, v4
	v_mov_b32_e32 v11, v3
	v_mov_b32_e32 v10, v2
	v_mov_b32_e32 v14, v26
	v_mov_b32_e32 v15, v28
	s_cbranch_execz .LBB22_93
	s_branch .LBB22_94
.LBB22_92:
                                        ; implicit-def: $vgpr10_vgpr11_vgpr12_vgpr13_vgpr14_vgpr15_vgpr16_vgpr17
.LBB22_93:
	v_mad_u64_u32 v[10:11], null, s14, v23, 0
	v_mad_u64_u32 v[11:12], null, s15, v23, v[11:12]
	v_lshlrev_b64 v[10:11], 4, v[10:11]
	v_add_co_u32 v10, vcc_lo, v21, v10
	v_add_co_ci_u32_e64 v11, null, v22, v11, vcc_lo
	global_load_dwordx4 v[10:13], v[10:11], off
	s_waitcnt vmcnt(0)
	v_cmp_neq_f64_e32 vcc_lo, 0, v[10:11]
	v_cmp_neq_f64_e64 s0, 0, v[12:13]
	s_or_b32 s0, vcc_lo, s0
	v_cndmask_b32_e64 v10, 0, 1, s0
	v_add_co_u32 v6, vcc_lo, v6, v10
	v_add_co_ci_u32_e64 v7, null, 0, v7, vcc_lo
	v_mov_b32_e32 v17, v9
	v_mov_b32_e32 v16, v8
	v_mov_b32_e32 v14, v6
	v_mov_b32_e32 v15, v7
	v_mov_b32_e32 v13, v5
	v_mov_b32_e32 v12, v4
	v_mov_b32_e32 v11, v3
	v_mov_b32_e32 v10, v2
.LBB22_94:
	v_mov_b32_e32 v2, v10
	v_mov_b32_e32 v3, v11
	v_mov_b32_e32 v4, v12
	v_mov_b32_e32 v5, v13
	v_mov_b32_e32 v6, v14
	v_mov_b32_e32 v7, v15
	v_mov_b32_e32 v8, v16
	v_mov_b32_e32 v9, v17
.LBB22_95:
	;; [unrolled: 63-line block ×3, first 2 shown]
	s_or_b32 exec_lo, exec_lo, s4
	s_or_b32 exec_lo, exec_lo, s3
	s_mov_b32 s3, exec_lo
	v_cmpx_gt_i32_e64 s9, v18
	s_cbranch_execz .LBB22_125
.LBB22_102:
	v_ashrrev_i32_e32 v19, 31, v18
	v_mul_lo_u32 v12, s15, v18
	v_mad_u64_u32 v[10:11], null, s14, v18, 0
	s_mov_b32 s4, exec_lo
	v_mul_lo_u32 v13, s14, v19
	v_add3_u32 v11, v11, v13, v12
	v_lshlrev_b64 v[12:13], 4, v[18:19]
	v_lshlrev_b64 v[10:11], 4, v[10:11]
	v_add_co_u32 v20, vcc_lo, s12, v12
	v_add_co_ci_u32_e64 v21, null, s13, v13, vcc_lo
	v_add_co_u32 v18, vcc_lo, v1, v10
	v_add_co_ci_u32_e64 v19, null, v27, v11, vcc_lo
	v_cmpx_gt_i32_e64 s10, v0
	s_cbranch_execz .LBB22_106
; %bb.103:
	v_mov_b32_e32 v10, v18
	v_mov_b32_e32 v11, v19
	s_andn2_b32 vcc_lo, exec_lo, s2
	s_cbranch_vccnz .LBB22_105
; %bb.104:
	v_mad_u64_u32 v[10:11], null, s14, v0, 0
	v_mov_b32_e32 v1, v11
	v_mad_u64_u32 v[11:12], null, s15, v0, v[1:2]
	v_lshlrev_b64 v[10:11], 4, v[10:11]
	v_add_co_u32 v10, vcc_lo, v20, v10
	v_add_co_ci_u32_e64 v11, null, v21, v11, vcc_lo
.LBB22_105:
	global_load_dwordx4 v[10:13], v[10:11], off
	s_waitcnt vmcnt(0)
	v_cmp_neq_f64_e32 vcc_lo, 0, v[10:11]
	v_cmp_neq_f64_e64 s0, 0, v[12:13]
	s_or_b32 s0, vcc_lo, s0
	v_cndmask_b32_e64 v1, 0, 1, s0
	v_add_co_u32 v8, vcc_lo, v8, v1
	v_add_co_ci_u32_e64 v9, null, 0, v9, vcc_lo
.LBB22_106:
	s_or_b32 exec_lo, exec_lo, s4
	v_or_b32_e32 v22, 1, v0
	v_cndmask_b32_e64 v1, 0, 1, s1
	s_mov_b32 s2, exec_lo
	v_cmpx_gt_i32_e64 s10, v22
	s_cbranch_execz .LBB22_112
; %bb.107:
	s_andn2_b32 vcc_lo, exec_lo, s1
	s_cbranch_vccnz .LBB22_109
; %bb.108:
	global_load_dwordx4 v[10:13], v[18:19], off offset:16
	s_waitcnt vmcnt(0)
	v_cmp_neq_f64_e32 vcc_lo, 0, v[10:11]
	v_cmp_neq_f64_e64 s0, 0, v[12:13]
	s_or_b32 s0, vcc_lo, s0
	v_cndmask_b32_e64 v10, 0, 1, s0
	v_add_co_u32 v23, vcc_lo, v8, v10
	v_add_co_ci_u32_e64 v26, null, 0, v9, vcc_lo
	v_mov_b32_e32 v17, v9
	v_mov_b32_e32 v16, v8
	;; [unrolled: 1-line block ×10, first 2 shown]
	s_cbranch_execz .LBB22_110
	s_branch .LBB22_111
.LBB22_109:
                                        ; implicit-def: $vgpr10_vgpr11_vgpr12_vgpr13_vgpr14_vgpr15_vgpr16_vgpr17
.LBB22_110:
	v_mad_u64_u32 v[10:11], null, s14, v22, 0
	v_mad_u64_u32 v[11:12], null, s15, v22, v[11:12]
	v_lshlrev_b64 v[10:11], 4, v[10:11]
	v_add_co_u32 v10, vcc_lo, v20, v10
	v_add_co_ci_u32_e64 v11, null, v21, v11, vcc_lo
	global_load_dwordx4 v[10:13], v[10:11], off
	s_waitcnt vmcnt(0)
	v_cmp_neq_f64_e32 vcc_lo, 0, v[10:11]
	v_cmp_neq_f64_e64 s0, 0, v[12:13]
	s_or_b32 s0, vcc_lo, s0
	v_cndmask_b32_e64 v10, 0, 1, s0
	v_add_co_u32 v8, vcc_lo, v8, v10
	v_add_co_ci_u32_e64 v9, null, 0, v9, vcc_lo
	v_mov_b32_e32 v17, v9
	v_mov_b32_e32 v16, v8
	;; [unrolled: 1-line block ×8, first 2 shown]
.LBB22_111:
	v_mov_b32_e32 v2, v10
	v_mov_b32_e32 v3, v11
	;; [unrolled: 1-line block ×8, first 2 shown]
.LBB22_112:
	s_or_b32 exec_lo, exec_lo, s2
	v_or_b32_e32 v22, 2, v0
	s_mov_b32 s1, exec_lo
	v_cmpx_gt_i32_e64 s10, v22
	s_cbranch_execz .LBB22_118
; %bb.113:
	v_cmp_ne_u32_e32 vcc_lo, 1, v1
	s_cbranch_vccnz .LBB22_115
; %bb.114:
	global_load_dwordx4 v[10:13], v[18:19], off offset:32
	s_waitcnt vmcnt(0)
	v_cmp_neq_f64_e32 vcc_lo, 0, v[10:11]
	v_cmp_neq_f64_e64 s0, 0, v[12:13]
	s_or_b32 s0, vcc_lo, s0
	v_cndmask_b32_e64 v10, 0, 1, s0
	v_add_co_u32 v23, vcc_lo, v8, v10
	v_add_co_ci_u32_e64 v26, null, 0, v9, vcc_lo
	v_mov_b32_e32 v17, v9
	v_mov_b32_e32 v16, v8
	;; [unrolled: 1-line block ×10, first 2 shown]
	s_cbranch_execz .LBB22_116
	s_branch .LBB22_117
.LBB22_115:
                                        ; implicit-def: $vgpr10_vgpr11_vgpr12_vgpr13_vgpr14_vgpr15_vgpr16_vgpr17
.LBB22_116:
	v_mad_u64_u32 v[10:11], null, s14, v22, 0
	v_mad_u64_u32 v[11:12], null, s15, v22, v[11:12]
	v_lshlrev_b64 v[10:11], 4, v[10:11]
	v_add_co_u32 v10, vcc_lo, v20, v10
	v_add_co_ci_u32_e64 v11, null, v21, v11, vcc_lo
	global_load_dwordx4 v[10:13], v[10:11], off
	s_waitcnt vmcnt(0)
	v_cmp_neq_f64_e32 vcc_lo, 0, v[10:11]
	v_cmp_neq_f64_e64 s0, 0, v[12:13]
	s_or_b32 s0, vcc_lo, s0
	v_cndmask_b32_e64 v10, 0, 1, s0
	v_add_co_u32 v8, vcc_lo, v8, v10
	v_add_co_ci_u32_e64 v9, null, 0, v9, vcc_lo
	v_mov_b32_e32 v17, v9
	v_mov_b32_e32 v16, v8
	;; [unrolled: 1-line block ×8, first 2 shown]
.LBB22_117:
	v_mov_b32_e32 v2, v10
	v_mov_b32_e32 v3, v11
	;; [unrolled: 1-line block ×8, first 2 shown]
.LBB22_118:
	s_or_b32 exec_lo, exec_lo, s1
	v_or_b32_e32 v0, 3, v0
	s_mov_b32 s1, exec_lo
	v_cmpx_gt_i32_e64 s10, v0
	s_cbranch_execz .LBB22_124
; %bb.119:
	v_cmp_ne_u32_e32 vcc_lo, 1, v1
	s_cbranch_vccnz .LBB22_121
; %bb.120:
	global_load_dwordx4 v[10:13], v[18:19], off offset:48
	s_waitcnt vmcnt(0)
	v_cmp_neq_f64_e32 vcc_lo, 0, v[10:11]
	v_cmp_neq_f64_e64 s0, 0, v[12:13]
	v_mov_b32_e32 v17, v9
	v_mov_b32_e32 v16, v8
	;; [unrolled: 1-line block ×8, first 2 shown]
	s_or_b32 s0, vcc_lo, s0
	v_cndmask_b32_e64 v1, 0, 1, s0
	v_add_co_u32 v1, vcc_lo, v8, v1
	v_add_co_ci_u32_e64 v18, null, 0, v9, vcc_lo
	v_mov_b32_e32 v16, v1
	v_mov_b32_e32 v17, v18
	s_cbranch_execz .LBB22_122
	s_branch .LBB22_123
.LBB22_121:
                                        ; implicit-def: $vgpr10_vgpr11_vgpr12_vgpr13_vgpr14_vgpr15_vgpr16_vgpr17
.LBB22_122:
	v_mad_u64_u32 v[10:11], null, s14, v0, 0
	v_mov_b32_e32 v1, v11
	v_mad_u64_u32 v[0:1], null, s15, v0, v[1:2]
	v_mov_b32_e32 v11, v0
	v_lshlrev_b64 v[0:1], 4, v[10:11]
	v_add_co_u32 v0, vcc_lo, v20, v0
	v_add_co_ci_u32_e64 v1, null, v21, v1, vcc_lo
	global_load_dwordx4 v[10:13], v[0:1], off
	s_waitcnt vmcnt(0)
	v_cmp_neq_f64_e32 vcc_lo, 0, v[10:11]
	v_cmp_neq_f64_e64 s0, 0, v[12:13]
	s_or_b32 s0, vcc_lo, s0
	v_cndmask_b32_e64 v0, 0, 1, s0
	v_add_co_u32 v8, vcc_lo, v8, v0
	v_add_co_ci_u32_e64 v9, null, 0, v9, vcc_lo
	v_mov_b32_e32 v17, v9
	v_mov_b32_e32 v16, v8
	;; [unrolled: 1-line block ×8, first 2 shown]
.LBB22_123:
	v_mov_b32_e32 v2, v10
	v_mov_b32_e32 v3, v11
	;; [unrolled: 1-line block ×8, first 2 shown]
.LBB22_124:
	s_or_b32 exec_lo, exec_lo, s1
.LBB22_125:
	s_or_b32 exec_lo, exec_lo, s3
.LBB22_126:
	v_lshlrev_b32_e32 v0, 5, v24
	v_lshlrev_b32_e32 v1, 3, v25
	s_mov_b32 s0, exec_lo
	v_and_or_b32 v0, 0xfffff800, v0, v1
	ds_write2st64_b64 v0, v[2:3], v[4:5] offset1:1
	ds_write2st64_b64 v0, v[6:7], v[8:9] offset0:2 offset1:3
	s_waitcnt lgkmcnt(0)
	s_barrier
	buffer_gl0_inv
	v_cmpx_gt_u32_e32 0x100, v24
	s_cbranch_execz .LBB22_129
; %bb.127:
	v_lshlrev_b32_e32 v12, 3, v24
	ds_read2st64_b64 v[0:3], v12 offset1:4
	ds_read2st64_b64 v[4:7], v12 offset0:8 offset1:12
	ds_read2st64_b64 v[8:11], v12 offset0:16 offset1:20
	s_waitcnt lgkmcnt(2)
	v_add_co_u32 v13, vcc_lo, v0, v2
	v_add_co_ci_u32_e64 v14, null, v1, v3, vcc_lo
	ds_read2st64_b64 v[0:3], v12 offset0:24 offset1:28
	s_waitcnt lgkmcnt(2)
	v_add_co_u32 v4, vcc_lo, v13, v4
	v_add_co_ci_u32_e64 v5, null, v14, v5, vcc_lo
	v_add_co_u32 v13, vcc_lo, v4, v6
	v_add_co_ci_u32_e64 v14, null, v5, v7, vcc_lo
	ds_read2st64_b64 v[4:7], v12 offset0:32 offset1:36
	s_waitcnt lgkmcnt(2)
	v_add_co_u32 v8, vcc_lo, v13, v8
	v_add_co_ci_u32_e64 v9, null, v14, v9, vcc_lo
	;; [unrolled: 6-line block ×5, first 2 shown]
	v_add_co_u32 v8, vcc_lo, v8, v10
	v_add_co_ci_u32_e64 v9, null, v9, v11, vcc_lo
	s_waitcnt lgkmcnt(1)
	v_add_co_u32 v0, vcc_lo, v8, v0
	v_add_co_ci_u32_e64 v1, null, v9, v1, vcc_lo
	v_add_co_u32 v0, vcc_lo, v0, v2
	v_add_co_ci_u32_e64 v1, null, v1, v3, vcc_lo
	v_add_nc_u32_e32 v2, s11, v24
	s_waitcnt lgkmcnt(0)
	v_add_co_u32 v0, vcc_lo, v0, v4
	v_add_co_ci_u32_e64 v1, null, v1, v5, vcc_lo
	v_add_co_u32 v0, vcc_lo, v0, v6
	v_add_co_ci_u32_e64 v1, null, v1, v7, vcc_lo
	v_cmp_gt_i32_e32 vcc_lo, s9, v2
	ds_write_b64 v12, v[0:1]
	s_and_b32 exec_lo, exec_lo, vcc_lo
	s_cbranch_execz .LBB22_129
; %bb.128:
	v_ashrrev_i32_e32 v3, 31, v2
	v_lshlrev_b64 v[2:3], 3, v[2:3]
	v_add_co_u32 v2, vcc_lo, s16, v2
	v_add_co_ci_u32_e64 v3, null, s17, v3, vcc_lo
	global_store_dwordx2 v[2:3], v[0:1], off
.LBB22_129:
	s_endpgm
	.section	.rodata,"a",@progbits
	.p2align	6, 0x0
	.amdhsa_kernel _ZN9rocsparseL14nnz_kernel_rowILi64ELi16Eli21rocsparse_complex_numIdEEEv16rocsparse_order_T2_S4_PKT3_lPT1_
		.amdhsa_group_segment_fixed_size 32768
		.amdhsa_private_segment_fixed_size 0
		.amdhsa_kernarg_size 296
		.amdhsa_user_sgpr_count 6
		.amdhsa_user_sgpr_private_segment_buffer 1
		.amdhsa_user_sgpr_dispatch_ptr 0
		.amdhsa_user_sgpr_queue_ptr 0
		.amdhsa_user_sgpr_kernarg_segment_ptr 1
		.amdhsa_user_sgpr_dispatch_id 0
		.amdhsa_user_sgpr_flat_scratch_init 0
		.amdhsa_user_sgpr_private_segment_size 0
		.amdhsa_wavefront_size32 1
		.amdhsa_uses_dynamic_stack 0
		.amdhsa_system_sgpr_private_segment_wavefront_offset 0
		.amdhsa_system_sgpr_workgroup_id_x 1
		.amdhsa_system_sgpr_workgroup_id_y 0
		.amdhsa_system_sgpr_workgroup_id_z 0
		.amdhsa_system_sgpr_workgroup_info 0
		.amdhsa_system_vgpr_workitem_id 1
		.amdhsa_next_free_vgpr 63
		.amdhsa_next_free_sgpr 25
		.amdhsa_reserve_vcc 1
		.amdhsa_reserve_flat_scratch 0
		.amdhsa_float_round_mode_32 0
		.amdhsa_float_round_mode_16_64 0
		.amdhsa_float_denorm_mode_32 3
		.amdhsa_float_denorm_mode_16_64 3
		.amdhsa_dx10_clamp 1
		.amdhsa_ieee_mode 1
		.amdhsa_fp16_overflow 0
		.amdhsa_workgroup_processor_mode 1
		.amdhsa_memory_ordered 1
		.amdhsa_forward_progress 1
		.amdhsa_shared_vgpr_count 0
		.amdhsa_exception_fp_ieee_invalid_op 0
		.amdhsa_exception_fp_denorm_src 0
		.amdhsa_exception_fp_ieee_div_zero 0
		.amdhsa_exception_fp_ieee_overflow 0
		.amdhsa_exception_fp_ieee_underflow 0
		.amdhsa_exception_fp_ieee_inexact 0
		.amdhsa_exception_int_div_zero 0
	.end_amdhsa_kernel
	.section	.text._ZN9rocsparseL14nnz_kernel_rowILi64ELi16Eli21rocsparse_complex_numIdEEEv16rocsparse_order_T2_S4_PKT3_lPT1_,"axG",@progbits,_ZN9rocsparseL14nnz_kernel_rowILi64ELi16Eli21rocsparse_complex_numIdEEEv16rocsparse_order_T2_S4_PKT3_lPT1_,comdat
.Lfunc_end22:
	.size	_ZN9rocsparseL14nnz_kernel_rowILi64ELi16Eli21rocsparse_complex_numIdEEEv16rocsparse_order_T2_S4_PKT3_lPT1_, .Lfunc_end22-_ZN9rocsparseL14nnz_kernel_rowILi64ELi16Eli21rocsparse_complex_numIdEEEv16rocsparse_order_T2_S4_PKT3_lPT1_
                                        ; -- End function
	.set _ZN9rocsparseL14nnz_kernel_rowILi64ELi16Eli21rocsparse_complex_numIdEEEv16rocsparse_order_T2_S4_PKT3_lPT1_.num_vgpr, 63
	.set _ZN9rocsparseL14nnz_kernel_rowILi64ELi16Eli21rocsparse_complex_numIdEEEv16rocsparse_order_T2_S4_PKT3_lPT1_.num_agpr, 0
	.set _ZN9rocsparseL14nnz_kernel_rowILi64ELi16Eli21rocsparse_complex_numIdEEEv16rocsparse_order_T2_S4_PKT3_lPT1_.numbered_sgpr, 25
	.set _ZN9rocsparseL14nnz_kernel_rowILi64ELi16Eli21rocsparse_complex_numIdEEEv16rocsparse_order_T2_S4_PKT3_lPT1_.num_named_barrier, 0
	.set _ZN9rocsparseL14nnz_kernel_rowILi64ELi16Eli21rocsparse_complex_numIdEEEv16rocsparse_order_T2_S4_PKT3_lPT1_.private_seg_size, 0
	.set _ZN9rocsparseL14nnz_kernel_rowILi64ELi16Eli21rocsparse_complex_numIdEEEv16rocsparse_order_T2_S4_PKT3_lPT1_.uses_vcc, 1
	.set _ZN9rocsparseL14nnz_kernel_rowILi64ELi16Eli21rocsparse_complex_numIdEEEv16rocsparse_order_T2_S4_PKT3_lPT1_.uses_flat_scratch, 0
	.set _ZN9rocsparseL14nnz_kernel_rowILi64ELi16Eli21rocsparse_complex_numIdEEEv16rocsparse_order_T2_S4_PKT3_lPT1_.has_dyn_sized_stack, 0
	.set _ZN9rocsparseL14nnz_kernel_rowILi64ELi16Eli21rocsparse_complex_numIdEEEv16rocsparse_order_T2_S4_PKT3_lPT1_.has_recursion, 0
	.set _ZN9rocsparseL14nnz_kernel_rowILi64ELi16Eli21rocsparse_complex_numIdEEEv16rocsparse_order_T2_S4_PKT3_lPT1_.has_indirect_call, 0
	.section	.AMDGPU.csdata,"",@progbits
; Kernel info:
; codeLenInByte = 8864
; TotalNumSgprs: 27
; NumVgprs: 63
; ScratchSize: 0
; MemoryBound: 0
; FloatMode: 240
; IeeeMode: 1
; LDSByteSize: 32768 bytes/workgroup (compile time only)
; SGPRBlocks: 0
; VGPRBlocks: 7
; NumSGPRsForWavesPerEU: 27
; NumVGPRsForWavesPerEU: 63
; Occupancy: 16
; WaveLimiterHint : 0
; COMPUTE_PGM_RSRC2:SCRATCH_EN: 0
; COMPUTE_PGM_RSRC2:USER_SGPR: 6
; COMPUTE_PGM_RSRC2:TRAP_HANDLER: 0
; COMPUTE_PGM_RSRC2:TGID_X_EN: 1
; COMPUTE_PGM_RSRC2:TGID_Y_EN: 0
; COMPUTE_PGM_RSRC2:TGID_Z_EN: 0
; COMPUTE_PGM_RSRC2:TIDIG_COMP_CNT: 1
	.section	.text._ZN9rocsparseL14nnz_kernel_colILi256Eli21rocsparse_complex_numIdEEEv16rocsparse_order_T1_S4_PKT2_lPT0_,"axG",@progbits,_ZN9rocsparseL14nnz_kernel_colILi256Eli21rocsparse_complex_numIdEEEv16rocsparse_order_T1_S4_PKT2_lPT0_,comdat
	.globl	_ZN9rocsparseL14nnz_kernel_colILi256Eli21rocsparse_complex_numIdEEEv16rocsparse_order_T1_S4_PKT2_lPT0_ ; -- Begin function _ZN9rocsparseL14nnz_kernel_colILi256Eli21rocsparse_complex_numIdEEEv16rocsparse_order_T1_S4_PKT2_lPT0_
	.p2align	8
	.type	_ZN9rocsparseL14nnz_kernel_colILi256Eli21rocsparse_complex_numIdEEEv16rocsparse_order_T1_S4_PKT2_lPT0_,@function
_ZN9rocsparseL14nnz_kernel_colILi256Eli21rocsparse_complex_numIdEEEv16rocsparse_order_T1_S4_PKT2_lPT0_: ; @_ZN9rocsparseL14nnz_kernel_colILi256Eli21rocsparse_complex_numIdEEEv16rocsparse_order_T1_S4_PKT2_lPT0_
; %bb.0:
	s_clause 0x1
	s_load_dwordx2 s[2:3], s[4:5], 0x0
	s_load_dwordx4 s[8:11], s[4:5], 0x10
	s_waitcnt lgkmcnt(0)
	s_ashr_i32 s0, s3, 31
	s_lshr_b32 s0, s0, 24
	s_add_i32 s0, s3, s0
	s_and_b32 s12, s0, 0xffffff00
	s_cmp_eq_u32 s2, 1
	s_cbranch_scc1 .LBB23_6
; %bb.1:
	v_mov_b32_e32 v1, 0
	v_mov_b32_e32 v2, 0
	s_cmpk_lt_i32 s3, 0x100
	s_cbranch_scc1 .LBB23_7
; %bb.2:
	v_mad_u64_u32 v[1:2], null, s10, v0, 0
	s_ashr_i32 s7, s6, 31
	s_lshl_b64 s[0:1], s[6:7], 4
	s_add_u32 s0, s8, s0
	s_addc_u32 s1, s9, s1
	v_mad_u64_u32 v[2:3], null, s11, v0, v[2:3]
	s_lshl_b64 s[14:15], s[10:11], 12
	v_lshlrev_b64 v[1:2], 4, v[1:2]
	v_add_co_u32 v3, vcc_lo, s0, v1
	v_add_co_ci_u32_e64 v4, null, s1, v2, vcc_lo
	v_mov_b32_e32 v1, 0
	v_add_co_u32 v3, vcc_lo, v3, 8
	v_mov_b32_e32 v2, 0
	v_add_co_ci_u32_e64 v4, null, 0, v4, vcc_lo
	s_mov_b32 s1, 0
	s_inst_prefetch 0x1
	s_branch .LBB23_4
	.p2align	6
.LBB23_3:                               ;   in Loop: Header=BB23_4 Depth=1
	s_or_b32 exec_lo, exec_lo, s2
	v_add_co_u32 v3, vcc_lo, v3, s14
	v_add_co_ci_u32_e64 v4, null, s15, v4, vcc_lo
	s_addk_i32 s1, 0x100
	s_cmp_ge_i32 s1, s12
	s_cbranch_scc1 .LBB23_7
.LBB23_4:                               ; =>This Inner Loop Header: Depth=1
	v_add_nc_u32_e32 v5, s1, v0
	s_mov_b32 s2, exec_lo
	v_cmpx_gt_i32_e64 s3, v5
	s_cbranch_execz .LBB23_3
; %bb.5:                                ;   in Loop: Header=BB23_4 Depth=1
	global_load_dwordx4 v[5:8], v[3:4], off offset:-8
	s_waitcnt vmcnt(0)
	v_cmp_neq_f64_e32 vcc_lo, 0, v[5:6]
	v_cmp_neq_f64_e64 s0, 0, v[7:8]
	s_or_b32 s0, vcc_lo, s0
	v_cndmask_b32_e64 v5, 0, 1, s0
	v_add_co_u32 v1, vcc_lo, v1, v5
	v_add_co_ci_u32_e64 v2, null, 0, v2, vcc_lo
	s_branch .LBB23_3
.LBB23_6:
	s_mov_b32 s2, 0
                                        ; implicit-def: $vgpr1_vgpr2
                                        ; implicit-def: $vgpr3_vgpr4
	s_cbranch_execnz .LBB23_10
	s_branch .LBB23_16
.LBB23_7:
	s_inst_prefetch 0x2
	v_add_nc_u32_e32 v5, s12, v0
	s_mov_b32 s0, 0
	s_mov_b32 s2, 0
	s_mov_b32 s1, exec_lo
                                        ; implicit-def: $vgpr3_vgpr4
	v_cmpx_gt_i32_e64 s3, v5
	s_xor_b32 s1, exec_lo, s1
	s_cbranch_execz .LBB23_9
; %bb.8:
	v_ashrrev_i32_e32 v6, 31, v5
	v_mul_lo_u32 v7, s11, v5
	v_mad_u64_u32 v[3:4], null, s10, v5, 0
	s_ashr_i32 s7, s6, 31
	v_mul_lo_u32 v5, s10, v6
	s_lshl_b64 s[14:15], s[6:7], 4
	s_mov_b32 s2, exec_lo
	v_add3_u32 v4, v4, v5, v7
	v_lshlrev_b64 v[3:4], 4, v[3:4]
	v_add_co_u32 v3, vcc_lo, s8, v3
	v_add_co_ci_u32_e64 v4, null, s9, v4, vcc_lo
	v_add_co_u32 v3, vcc_lo, v3, s14
	v_add_co_ci_u32_e64 v4, null, s15, v4, vcc_lo
.LBB23_9:
	s_or_b32 exec_lo, exec_lo, s1
	s_and_b32 vcc_lo, exec_lo, s0
	s_cbranch_vccz .LBB23_16
.LBB23_10:
	v_cmp_gt_i32_e32 vcc_lo, s3, v0
	s_ashr_i32 s0, s6, 31
	s_mul_hi_u32 s1, s10, s6
	s_mul_i32 s0, s10, s0
	v_mov_b32_e32 v1, 0
	v_cndmask_b32_e32 v3, 0, v0, vcc_lo
	s_add_i32 s0, s1, s0
	s_mul_i32 s1, s11, s6
	v_mov_b32_e32 v2, 0
	s_add_i32 s11, s0, s1
	v_lshlrev_b32_e32 v5, 4, v3
	s_mul_i32 s10, s10, s6
	s_cmpk_lt_i32 s3, 0x100
	s_mov_b32 s7, 0
	s_cbranch_scc1 .LBB23_13
; %bb.11:
	s_lshl_b64 s[0:1], s[10:11], 4
	v_mov_b32_e32 v1, 0
	s_add_u32 s0, s8, s0
	s_addc_u32 s1, s9, s1
	v_add_co_u32 v3, s0, s0, v5
	v_add_co_ci_u32_e64 v4, null, s1, 0, s0
	v_mov_b32_e32 v2, 0
	v_add_co_u32 v3, vcc_lo, v3, 8
	v_add_co_ci_u32_e64 v4, null, 0, v4, vcc_lo
	.p2align	6
.LBB23_12:                              ; =>This Inner Loop Header: Depth=1
	global_load_dwordx4 v[6:9], v[3:4], off offset:-8
	v_add_co_u32 v3, s1, 0x1000, v3
	v_add_co_ci_u32_e64 v4, null, 0, v4, s1
	s_addk_i32 s7, 0x100
	s_waitcnt vmcnt(0)
	v_cmp_neq_f64_e32 vcc_lo, 0, v[6:7]
	v_cmp_neq_f64_e64 s0, 0, v[8:9]
	s_or_b32 s0, vcc_lo, s0
	s_cmp_ge_i32 s7, s12
	v_cndmask_b32_e64 v6, 0, 1, s0
	v_add_co_u32 v1, vcc_lo, v1, v6
	v_add_co_ci_u32_e64 v2, null, 0, v2, vcc_lo
	s_cbranch_scc0 .LBB23_12
.LBB23_13:
	v_add_nc_u32_e32 v3, s12, v0
	v_cmp_gt_i32_e32 vcc_lo, s3, v3
                                        ; implicit-def: $vgpr3_vgpr4
	s_and_saveexec_b32 s0, vcc_lo
; %bb.14:
	s_lshl_b64 s[10:11], s[10:11], 4
	s_add_u32 s1, s8, s10
	s_addc_u32 s7, s9, s11
	v_add_co_u32 v3, s1, s1, v5
	s_ashr_i32 s13, s12, 31
	v_add_co_ci_u32_e64 v4, null, s7, 0, s1
	s_lshl_b64 s[8:9], s[12:13], 4
	s_or_b32 s2, s2, exec_lo
	v_add_co_u32 v3, vcc_lo, v3, s8
	v_add_co_ci_u32_e64 v4, null, s9, v4, vcc_lo
; %bb.15:
	s_or_b32 exec_lo, exec_lo, s0
.LBB23_16:
	s_and_saveexec_b32 s1, s2
	s_cbranch_execz .LBB23_18
; %bb.17:
	global_load_dwordx4 v[3:6], v[3:4], off
	s_waitcnt vmcnt(0)
	v_cmp_neq_f64_e32 vcc_lo, 0, v[3:4]
	v_cmp_neq_f64_e64 s0, 0, v[5:6]
	s_or_b32 s0, vcc_lo, s0
	v_cndmask_b32_e64 v3, 0, 1, s0
	v_add_co_u32 v1, vcc_lo, v1, v3
	v_add_co_ci_u32_e64 v2, null, 0, v2, vcc_lo
.LBB23_18:
	s_or_b32 exec_lo, exec_lo, s1
	v_lshlrev_b32_e32 v3, 3, v0
	s_cmpk_lt_i32 s3, 0x100
	s_mov_b32 s0, -1
	v_cmp_eq_u32_e32 vcc_lo, 0, v0
	ds_write_b64 v3, v[1:2]
	s_waitcnt lgkmcnt(0)
	s_cbranch_scc0 .LBB23_29
; %bb.19:
	s_cmp_gt_i32 s3, 1
	s_mov_b32 s2, 1
	s_cselect_b32 s0, -1, 0
	s_barrier
	s_and_b32 s1, vcc_lo, s0
	buffer_gl0_inv
	s_and_saveexec_b32 s0, s1
	s_cbranch_execz .LBB23_28
; %bb.20:
	v_mov_b32_e32 v1, 0
	s_add_i32 s7, s3, -2
	s_add_i32 s1, s3, -1
	s_cmp_lt_u32 s7, 7
	ds_read_b64 v[1:2], v1
	s_cbranch_scc1 .LBB23_24
; %bb.21:
	s_and_b32 s2, s1, -8
	s_mov_b32 s7, 0
	s_mov_b32 s3, 8
	s_inst_prefetch 0x1
	.p2align	6
.LBB23_22:                              ; =>This Inner Loop Header: Depth=1
	v_mov_b32_e32 v16, s3
	s_mov_b32 s8, s7
	s_add_i32 s7, s7, 8
	s_add_i32 s3, s3, 64
	s_cmp_lg_u32 s2, s7
	ds_read2_b64 v[4:7], v16 offset1:1
	ds_read2_b64 v[8:11], v16 offset0:2 offset1:3
	ds_read2_b64 v[12:15], v16 offset0:4 offset1:5
	s_waitcnt lgkmcnt(2)
	v_add_co_u32 v1, vcc_lo, v1, v4
	v_add_co_ci_u32_e64 v2, null, v2, v5, vcc_lo
	v_add_co_u32 v1, vcc_lo, v1, v6
	v_add_co_ci_u32_e64 v2, null, v2, v7, vcc_lo
	ds_read2_b64 v[4:7], v16 offset0:6 offset1:7
	s_waitcnt lgkmcnt(2)
	v_add_co_u32 v1, vcc_lo, v1, v8
	v_add_co_ci_u32_e64 v2, null, v2, v9, vcc_lo
	v_add_co_u32 v1, vcc_lo, v1, v10
	v_add_co_ci_u32_e64 v2, null, v2, v11, vcc_lo
	s_waitcnt lgkmcnt(1)
	v_add_co_u32 v1, vcc_lo, v1, v12
	v_add_co_ci_u32_e64 v2, null, v2, v13, vcc_lo
	v_add_co_u32 v1, vcc_lo, v1, v14
	v_add_co_ci_u32_e64 v2, null, v2, v15, vcc_lo
	;; [unrolled: 5-line block ×3, first 2 shown]
	s_cbranch_scc1 .LBB23_22
; %bb.23:
	s_inst_prefetch 0x2
	s_add_i32 s2, s8, 9
.LBB23_24:
	s_and_b32 s1, s1, 7
	s_cmp_eq_u32 s1, 0
	s_cbranch_scc1 .LBB23_27
; %bb.25:
	s_lshl_b32 s2, s2, 3
.LBB23_26:                              ; =>This Inner Loop Header: Depth=1
	v_mov_b32_e32 v4, s2
	s_add_i32 s1, s1, -1
	s_add_i32 s2, s2, 8
	s_cmp_lg_u32 s1, 0
	ds_read_b64 v[4:5], v4
	s_waitcnt lgkmcnt(0)
	v_add_co_u32 v1, vcc_lo, v1, v4
	v_add_co_ci_u32_e64 v2, null, v2, v5, vcc_lo
	s_cbranch_scc1 .LBB23_26
.LBB23_27:
	v_mov_b32_e32 v4, 0
	s_waitcnt lgkmcnt(0)
	ds_write_b64 v4, v[1:2]
.LBB23_28:
	s_or_b32 exec_lo, exec_lo, s0
	s_mov_b32 s0, 0
	s_waitcnt lgkmcnt(0)
	s_barrier
.LBB23_29:
	s_and_b32 vcc_lo, exec_lo, s0
	s_cbranch_vccz .LBB23_47
; %bb.30:
	s_mov_b32 s0, exec_lo
	s_barrier
	buffer_gl0_inv
	v_cmpx_gt_u32_e32 0x80, v0
	s_cbranch_execz .LBB23_32
; %bb.31:
	ds_read2st64_b64 v[4:7], v3 offset1:2
	s_waitcnt lgkmcnt(0)
	v_add_co_u32 v1, vcc_lo, v4, v6
	v_add_co_ci_u32_e64 v2, null, v5, v7, vcc_lo
	ds_write_b64 v3, v[1:2]
.LBB23_32:
	s_or_b32 exec_lo, exec_lo, s0
	s_mov_b32 s0, exec_lo
	s_waitcnt lgkmcnt(0)
	s_barrier
	buffer_gl0_inv
	v_cmpx_gt_u32_e32 64, v0
	s_cbranch_execz .LBB23_34
; %bb.33:
	ds_read2st64_b64 v[4:7], v3 offset1:1
	s_waitcnt lgkmcnt(0)
	v_add_co_u32 v1, vcc_lo, v4, v6
	v_add_co_ci_u32_e64 v2, null, v5, v7, vcc_lo
	ds_write_b64 v3, v[1:2]
.LBB23_34:
	s_or_b32 exec_lo, exec_lo, s0
	s_mov_b32 s0, exec_lo
	s_waitcnt lgkmcnt(0)
	s_barrier
	buffer_gl0_inv
	v_cmpx_gt_u32_e32 32, v0
	s_cbranch_execz .LBB23_36
; %bb.35:
	ds_read2_b64 v[4:7], v3 offset1:32
	s_waitcnt lgkmcnt(0)
	v_add_co_u32 v1, vcc_lo, v4, v6
	v_add_co_ci_u32_e64 v2, null, v5, v7, vcc_lo
	ds_write_b64 v3, v[1:2]
.LBB23_36:
	s_or_b32 exec_lo, exec_lo, s0
	s_mov_b32 s0, exec_lo
	s_waitcnt lgkmcnt(0)
	s_barrier
	buffer_gl0_inv
	v_cmpx_gt_u32_e32 16, v0
	s_cbranch_execz .LBB23_38
; %bb.37:
	ds_read2_b64 v[4:7], v3 offset1:16
	s_waitcnt lgkmcnt(0)
	v_add_co_u32 v1, vcc_lo, v4, v6
	v_add_co_ci_u32_e64 v2, null, v5, v7, vcc_lo
	ds_write_b64 v3, v[1:2]
.LBB23_38:
	;; [unrolled: 14-line block ×5, first 2 shown]
	s_or_b32 exec_lo, exec_lo, s0
	s_mov_b32 s0, exec_lo
	s_waitcnt lgkmcnt(0)
	s_barrier
	buffer_gl0_inv
	v_cmpx_eq_u32_e32 0, v0
	s_cbranch_execz .LBB23_46
; %bb.45:
	v_mov_b32_e32 v5, 0
	ds_read_b128 v[1:4], v5
	s_waitcnt lgkmcnt(0)
	v_add_co_u32 v1, vcc_lo, v1, v3
	v_add_co_ci_u32_e64 v2, null, v2, v4, vcc_lo
	ds_write_b64 v5, v[1:2]
.LBB23_46:
	s_or_b32 exec_lo, exec_lo, s0
	s_waitcnt lgkmcnt(0)
	s_barrier
.LBB23_47:
	buffer_gl0_inv
	s_mov_b32 s0, exec_lo
	v_cmpx_eq_u32_e32 0, v0
	s_cbranch_execz .LBB23_49
; %bb.48:
	v_mov_b32_e32 v2, 0
	s_load_dwordx2 s[0:1], s[4:5], 0x20
	s_ashr_i32 s7, s6, 31
	s_lshl_b64 s[2:3], s[6:7], 3
	ds_read_b64 v[0:1], v2
	s_waitcnt lgkmcnt(0)
	s_add_u32 s0, s0, s2
	s_addc_u32 s1, s1, s3
	global_store_dwordx2 v2, v[0:1], s[0:1]
.LBB23_49:
	s_endpgm
	.section	.rodata,"a",@progbits
	.p2align	6, 0x0
	.amdhsa_kernel _ZN9rocsparseL14nnz_kernel_colILi256Eli21rocsparse_complex_numIdEEEv16rocsparse_order_T1_S4_PKT2_lPT0_
		.amdhsa_group_segment_fixed_size 2048
		.amdhsa_private_segment_fixed_size 0
		.amdhsa_kernarg_size 40
		.amdhsa_user_sgpr_count 6
		.amdhsa_user_sgpr_private_segment_buffer 1
		.amdhsa_user_sgpr_dispatch_ptr 0
		.amdhsa_user_sgpr_queue_ptr 0
		.amdhsa_user_sgpr_kernarg_segment_ptr 1
		.amdhsa_user_sgpr_dispatch_id 0
		.amdhsa_user_sgpr_flat_scratch_init 0
		.amdhsa_user_sgpr_private_segment_size 0
		.amdhsa_wavefront_size32 1
		.amdhsa_uses_dynamic_stack 0
		.amdhsa_system_sgpr_private_segment_wavefront_offset 0
		.amdhsa_system_sgpr_workgroup_id_x 1
		.amdhsa_system_sgpr_workgroup_id_y 0
		.amdhsa_system_sgpr_workgroup_id_z 0
		.amdhsa_system_sgpr_workgroup_info 0
		.amdhsa_system_vgpr_workitem_id 0
		.amdhsa_next_free_vgpr 17
		.amdhsa_next_free_sgpr 16
		.amdhsa_reserve_vcc 1
		.amdhsa_reserve_flat_scratch 0
		.amdhsa_float_round_mode_32 0
		.amdhsa_float_round_mode_16_64 0
		.amdhsa_float_denorm_mode_32 3
		.amdhsa_float_denorm_mode_16_64 3
		.amdhsa_dx10_clamp 1
		.amdhsa_ieee_mode 1
		.amdhsa_fp16_overflow 0
		.amdhsa_workgroup_processor_mode 1
		.amdhsa_memory_ordered 1
		.amdhsa_forward_progress 1
		.amdhsa_shared_vgpr_count 0
		.amdhsa_exception_fp_ieee_invalid_op 0
		.amdhsa_exception_fp_denorm_src 0
		.amdhsa_exception_fp_ieee_div_zero 0
		.amdhsa_exception_fp_ieee_overflow 0
		.amdhsa_exception_fp_ieee_underflow 0
		.amdhsa_exception_fp_ieee_inexact 0
		.amdhsa_exception_int_div_zero 0
	.end_amdhsa_kernel
	.section	.text._ZN9rocsparseL14nnz_kernel_colILi256Eli21rocsparse_complex_numIdEEEv16rocsparse_order_T1_S4_PKT2_lPT0_,"axG",@progbits,_ZN9rocsparseL14nnz_kernel_colILi256Eli21rocsparse_complex_numIdEEEv16rocsparse_order_T1_S4_PKT2_lPT0_,comdat
.Lfunc_end23:
	.size	_ZN9rocsparseL14nnz_kernel_colILi256Eli21rocsparse_complex_numIdEEEv16rocsparse_order_T1_S4_PKT2_lPT0_, .Lfunc_end23-_ZN9rocsparseL14nnz_kernel_colILi256Eli21rocsparse_complex_numIdEEEv16rocsparse_order_T1_S4_PKT2_lPT0_
                                        ; -- End function
	.set _ZN9rocsparseL14nnz_kernel_colILi256Eli21rocsparse_complex_numIdEEEv16rocsparse_order_T1_S4_PKT2_lPT0_.num_vgpr, 17
	.set _ZN9rocsparseL14nnz_kernel_colILi256Eli21rocsparse_complex_numIdEEEv16rocsparse_order_T1_S4_PKT2_lPT0_.num_agpr, 0
	.set _ZN9rocsparseL14nnz_kernel_colILi256Eli21rocsparse_complex_numIdEEEv16rocsparse_order_T1_S4_PKT2_lPT0_.numbered_sgpr, 16
	.set _ZN9rocsparseL14nnz_kernel_colILi256Eli21rocsparse_complex_numIdEEEv16rocsparse_order_T1_S4_PKT2_lPT0_.num_named_barrier, 0
	.set _ZN9rocsparseL14nnz_kernel_colILi256Eli21rocsparse_complex_numIdEEEv16rocsparse_order_T1_S4_PKT2_lPT0_.private_seg_size, 0
	.set _ZN9rocsparseL14nnz_kernel_colILi256Eli21rocsparse_complex_numIdEEEv16rocsparse_order_T1_S4_PKT2_lPT0_.uses_vcc, 1
	.set _ZN9rocsparseL14nnz_kernel_colILi256Eli21rocsparse_complex_numIdEEEv16rocsparse_order_T1_S4_PKT2_lPT0_.uses_flat_scratch, 0
	.set _ZN9rocsparseL14nnz_kernel_colILi256Eli21rocsparse_complex_numIdEEEv16rocsparse_order_T1_S4_PKT2_lPT0_.has_dyn_sized_stack, 0
	.set _ZN9rocsparseL14nnz_kernel_colILi256Eli21rocsparse_complex_numIdEEEv16rocsparse_order_T1_S4_PKT2_lPT0_.has_recursion, 0
	.set _ZN9rocsparseL14nnz_kernel_colILi256Eli21rocsparse_complex_numIdEEEv16rocsparse_order_T1_S4_PKT2_lPT0_.has_indirect_call, 0
	.section	.AMDGPU.csdata,"",@progbits
; Kernel info:
; codeLenInByte = 1900
; TotalNumSgprs: 18
; NumVgprs: 17
; ScratchSize: 0
; MemoryBound: 0
; FloatMode: 240
; IeeeMode: 1
; LDSByteSize: 2048 bytes/workgroup (compile time only)
; SGPRBlocks: 0
; VGPRBlocks: 2
; NumSGPRsForWavesPerEU: 18
; NumVGPRsForWavesPerEU: 17
; Occupancy: 16
; WaveLimiterHint : 0
; COMPUTE_PGM_RSRC2:SCRATCH_EN: 0
; COMPUTE_PGM_RSRC2:USER_SGPR: 6
; COMPUTE_PGM_RSRC2:TRAP_HANDLER: 0
; COMPUTE_PGM_RSRC2:TGID_X_EN: 1
; COMPUTE_PGM_RSRC2:TGID_Y_EN: 0
; COMPUTE_PGM_RSRC2:TGID_Z_EN: 0
; COMPUTE_PGM_RSRC2:TIDIG_COMP_CNT: 0
	.section	.text._ZN9rocsparseL14nnz_kernel_rowILi64ELi16Ell18rocsparse_bfloat16EEv16rocsparse_order_T2_S3_PKT3_lPT1_,"axG",@progbits,_ZN9rocsparseL14nnz_kernel_rowILi64ELi16Ell18rocsparse_bfloat16EEv16rocsparse_order_T2_S3_PKT3_lPT1_,comdat
	.globl	_ZN9rocsparseL14nnz_kernel_rowILi64ELi16Ell18rocsparse_bfloat16EEv16rocsparse_order_T2_S3_PKT3_lPT1_ ; -- Begin function _ZN9rocsparseL14nnz_kernel_rowILi64ELi16Ell18rocsparse_bfloat16EEv16rocsparse_order_T2_S3_PKT3_lPT1_
	.p2align	8
	.type	_ZN9rocsparseL14nnz_kernel_rowILi64ELi16Ell18rocsparse_bfloat16EEv16rocsparse_order_T2_S3_PKT3_lPT1_,@function
_ZN9rocsparseL14nnz_kernel_rowILi64ELi16Ell18rocsparse_bfloat16EEv16rocsparse_order_T2_S3_PKT3_lPT1_: ; @_ZN9rocsparseL14nnz_kernel_rowILi64ELi16Ell18rocsparse_bfloat16EEv16rocsparse_order_T2_S3_PKT3_lPT1_
; %bb.0:
	s_clause 0x3
	s_load_dword s0, s[4:5], 0x3c
	s_load_dwordx8 s[8:15], s[4:5], 0x8
	s_load_dwordx2 s[16:17], s[4:5], 0x28
	s_load_dword s22, s[4:5], 0x0
	s_lshl_b32 s5, s6, 8
	v_mov_b32_e32 v21, 0
	s_mov_b32 s24, 0
	s_mov_b32 s23, exec_lo
	v_mov_b32_e32 v19, v21
	v_mov_b32_e32 v2, v21
	v_mov_b32_e32 v3, v21
	v_mov_b32_e32 v4, v21
	v_mov_b32_e32 v5, v21
	v_mov_b32_e32 v6, v21
	v_mov_b32_e32 v7, v21
	v_mov_b32_e32 v8, v21
	v_mov_b32_e32 v9, v21
	s_waitcnt lgkmcnt(0)
	s_and_b32 s0, s0, 0xffff
	v_mad_u32_u24 v32, v1, s0, v0
	s_ashr_i32 s0, s11, 31
	s_lshr_b32 s0, s0, 26
	s_add_u32 s0, s10, s0
	v_and_b32_e32 v33, 63, v32
	v_lshrrev_b32_e32 v0, 4, v32
	s_addc_u32 s19, s11, 0
	s_and_b32 s18, s0, 0xffffffc0
	v_or_b32_e32 v20, s5, v33
	v_and_b32_e32 v18, 0x7ffffc, v0
	s_sub_u32 s6, s10, s18
	s_subb_u32 s7, s11, s19
	v_or_b32_e32 v24, 64, v20
	v_or_b32_e32 v22, 0x80, v20
	;; [unrolled: 1-line block ×3, first 2 shown]
	v_cmpx_gt_i64_e64 s[18:19], v[18:19]
	s_cbranch_execz .LBB24_28
; %bb.1:
	v_add_co_u32 v2, s0, s5, v33
	v_add_co_ci_u32_e64 v3, null, 0, 0, s0
	v_mov_b32_e32 v1, v21
	v_mul_lo_u32 v6, s15, v2
	v_mad_u64_u32 v[4:5], null, s14, v2, 0
	v_mul_lo_u32 v7, s14, v3
	v_add_co_u32 v8, vcc_lo, v2, 64
	v_add_co_ci_u32_e64 v9, null, 0, v3, vcc_lo
	v_lshrrev_b32_e32 v14, 6, v32
	v_cmp_gt_i64_e64 s3, s[8:9], v[0:1]
	v_mul_lo_u32 v1, s15, v8
	v_add3_u32 v5, v5, v7, v6
	v_mul_lo_u32 v9, s14, v9
	v_mad_u64_u32 v[6:7], null, s14, v8, 0
	v_add_co_u32 v8, vcc_lo, 0x80, v2
	v_lshlrev_b64 v[4:5], 1, v[4:5]
	v_mov_b32_e32 v23, v21
	v_lshlrev_b32_e32 v16, 3, v14
	v_add_co_ci_u32_e64 v10, null, 0, v3, vcc_lo
	v_add3_u32 v7, v7, v9, v1
	v_cmp_gt_i64_e64 s2, s[8:9], v[22:23]
	v_add_co_u32 v23, vcc_lo, v4, v16
	v_mul_lo_u32 v1, s15, v8
	v_mul_lo_u32 v10, s14, v10
	v_mad_u64_u32 v[8:9], null, s14, v8, 0
	v_add_co_ci_u32_e64 v29, null, 0, v5, vcc_lo
	v_add_co_u32 v11, vcc_lo, 0xc0, v2
	v_mov_b32_e32 v25, v21
	v_add_co_ci_u32_e64 v12, null, 0, v3, vcc_lo
	v_add3_u32 v9, v9, v10, v1
	v_mul_lo_u32 v15, s15, v11
	v_cmp_gt_i64_e64 s1, s[8:9], v[24:25]
	v_mul_lo_u32 v25, s14, v12
	v_mad_u64_u32 v[10:11], null, s14, v11, 0
	v_lshlrev_b64 v[4:5], 1, v[6:7]
	v_mad_u64_u32 v[12:13], null, s14, v14, 0
	v_lshlrev_b64 v[6:7], 1, v[2:3]
	v_or_b32_e32 v17, 6, v16
	v_or_b32_e32 v36, 2, v16
	v_add_co_u32 v30, vcc_lo, v4, v16
	v_lshlrev_b64 v[3:4], 1, v[8:9]
	v_add3_u32 v11, v11, v25, v15
	v_or_b32_e32 v15, 4, v16
	v_add_co_ci_u32_e64 v31, null, 0, v5, vcc_lo
	v_mov_b32_e32 v5, v13
	v_mad_u64_u32 v[1:2], null, s14, v17, v[6:7]
	v_mad_u64_u32 v[25:26], null, s14, v15, v[6:7]
	;; [unrolled: 1-line block ×4, first 2 shown]
	v_add_co_u32 v34, vcc_lo, v3, v16
	v_add_co_ci_u32_e64 v35, null, 0, v4, vcc_lo
	v_lshlrev_b64 v[3:4], 1, v[10:11]
	v_mov_b32_e32 v5, v26
	v_mov_b32_e32 v13, v8
	v_cmp_gt_i64_e64 s0, s[8:9], v[20:21]
	v_mov_b32_e32 v8, v21
	v_mov_b32_e32 v41, 0x7fff
	v_mad_u64_u32 v[9:10], null, s15, v17, v[2:3]
	v_mov_b32_e32 v2, v28
	v_mad_u64_u32 v[10:11], null, s15, v15, v[5:6]
	v_lshlrev_b64 v[11:12], 3, v[12:13]
	v_add_co_u32 v26, vcc_lo, v3, v16
	v_mad_u64_u32 v[14:15], null, s15, v36, v[2:3]
	v_add_co_ci_u32_e64 v28, null, 0, v4, vcc_lo
	v_add_co_u32 v39, vcc_lo, v11, v6
	v_mov_b32_e32 v36, v9
	v_mov_b32_e32 v37, v10
	v_mov_b32_e32 v38, v14
	v_add_co_ci_u32_e64 v40, null, v12, v7, vcc_lo
	v_mov_b32_e32 v2, v21
	v_mov_b32_e32 v3, v21
	;; [unrolled: 1-line block ×7, first 2 shown]
	s_cmp_lg_u32 s22, 1
	s_cselect_b32 s25, -1, 0
	s_lshl_b64 s[20:21], s[14:15], 7
	s_branch .LBB24_4
.LBB24_2:                               ;   in Loop: Header=BB24_4 Depth=1
	v_mov_b32_e32 v2, v10
	v_mov_b32_e32 v3, v11
	;; [unrolled: 1-line block ×8, first 2 shown]
.LBB24_3:                               ;   in Loop: Header=BB24_4 Depth=1
	s_or_b32 exec_lo, exec_lo, s4
	v_add_co_u32 v18, vcc_lo, v18, 64
	v_add_co_ci_u32_e64 v19, null, 0, v19, vcc_lo
	v_add_co_u32 v23, vcc_lo, 0x80, v23
	v_add_co_ci_u32_e64 v29, null, 0, v29, vcc_lo
	;; [unrolled: 2-line block ×8, first 2 shown]
	v_cmp_le_i64_e32 vcc_lo, s[18:19], v[18:19]
	v_add_co_u32 v39, s4, v39, s20
	v_add_co_ci_u32_e64 v40, null, s21, v40, s4
	s_or_b32 s24, vcc_lo, s24
	s_andn2_b32 exec_lo, exec_lo, s24
	s_cbranch_execz .LBB24_27
.LBB24_4:                               ; =>This Inner Loop Header: Depth=1
	s_and_saveexec_b32 s4, s0
	s_cbranch_execnz .LBB24_8
; %bb.5:                                ;   in Loop: Header=BB24_4 Depth=1
	s_or_b32 exec_lo, exec_lo, s4
	s_and_saveexec_b32 s4, s1
	s_cbranch_execnz .LBB24_13
.LBB24_6:                               ;   in Loop: Header=BB24_4 Depth=1
	s_or_b32 exec_lo, exec_lo, s4
	s_and_saveexec_b32 s4, s2
	s_cbranch_execnz .LBB24_18
.LBB24_7:                               ;   in Loop: Header=BB24_4 Depth=1
	s_or_b32 exec_lo, exec_lo, s4
	s_and_saveexec_b32 s4, s3
	s_cbranch_execz .LBB24_3
	s_branch .LBB24_23
.LBB24_8:                               ;   in Loop: Header=BB24_4 Depth=1
	s_andn2_b32 vcc_lo, exec_lo, s25
	s_mov_b32 s26, -1
                                        ; implicit-def: $vgpr10_vgpr11_vgpr12_vgpr13_vgpr14_vgpr15_vgpr16_vgpr17
	s_cbranch_vccnz .LBB24_10
; %bb.9:                                ;   in Loop: Header=BB24_4 Depth=1
	v_add_co_u32 v10, vcc_lo, s12, v23
	v_add_co_ci_u32_e64 v11, null, s13, v29, vcc_lo
	v_add_co_u32 v13, vcc_lo, v2, 1
	v_add_co_ci_u32_e64 v14, null, 0, v3, vcc_lo
	global_load_dwordx2 v[10:11], v[10:11], off
	v_mov_b32_e32 v16, v8
	s_mov_b32 s26, 0
	s_waitcnt vmcnt(0)
	v_and_b32_e32 v12, 0x7fff, v10
	v_and_b32_sdwa v10, v10, v41 dst_sel:DWORD dst_unused:UNUSED_PAD src0_sel:WORD_1 src1_sel:DWORD
	v_cmp_eq_u16_e32 vcc_lo, 0, v12
	v_cndmask_b32_e32 v13, v13, v2, vcc_lo
	v_cndmask_b32_e32 v12, v14, v3, vcc_lo
	v_add_co_u32 v14, vcc_lo, v13, 1
	v_add_co_ci_u32_e64 v15, null, 0, v12, vcc_lo
	v_cmp_eq_u16_e32 vcc_lo, 0, v10
	v_cndmask_b32_e32 v10, v15, v12, vcc_lo
	v_cndmask_b32_e32 v12, v14, v13, vcc_lo
	v_and_b32_e32 v13, 0x7fff, v11
	v_and_b32_sdwa v11, v11, v41 dst_sel:DWORD dst_unused:UNUSED_PAD src0_sel:WORD_1 src1_sel:DWORD
	v_add_co_u32 v14, vcc_lo, v12, 1
	v_add_co_ci_u32_e64 v15, null, 0, v10, vcc_lo
	v_cmp_eq_u16_e32 vcc_lo, 0, v13
	v_mov_b32_e32 v13, v5
	v_cndmask_b32_e32 v17, v14, v12, vcc_lo
	v_cndmask_b32_e32 v10, v15, v10, vcc_lo
	v_mov_b32_e32 v12, v4
	v_mov_b32_e32 v14, v6
	v_mov_b32_e32 v15, v7
	v_add_co_u32 v42, vcc_lo, v17, 1
	v_add_co_ci_u32_e64 v43, null, 0, v10, vcc_lo
	v_cmp_eq_u16_e32 vcc_lo, 0, v11
	v_cndmask_b32_e32 v11, v43, v10, vcc_lo
	v_cndmask_b32_e32 v10, v42, v17, vcc_lo
	v_mov_b32_e32 v17, v9
.LBB24_10:                              ;   in Loop: Header=BB24_4 Depth=1
	s_andn2_b32 vcc_lo, exec_lo, s26
	s_cbranch_vccnz .LBB24_12
; %bb.11:                               ;   in Loop: Header=BB24_4 Depth=1
	v_add_co_u32 v10, vcc_lo, s12, v39
	v_add_co_ci_u32_e64 v11, null, s13, v40, vcc_lo
	global_load_ushort v12, v[10:11], off
	v_add_co_u32 v10, vcc_lo, s12, v27
	v_add_co_ci_u32_e64 v11, null, s13, v38, vcc_lo
	global_load_ushort v13, v[10:11], off
	;; [unrolled: 3-line block ×4, first 2 shown]
	s_waitcnt vmcnt(3)
	v_and_b32_e32 v11, 0x7fff, v12
	v_add_co_u32 v12, vcc_lo, v2, 1
	v_add_co_ci_u32_e64 v15, null, 0, v3, vcc_lo
	v_cmp_eq_u16_e32 vcc_lo, 0, v11
	s_waitcnt vmcnt(2)
	v_and_b32_e32 v11, 0x7fff, v13
	v_cndmask_b32_e32 v2, v12, v2, vcc_lo
	v_cndmask_b32_e32 v3, v15, v3, vcc_lo
	v_add_co_u32 v12, vcc_lo, v2, 1
	v_add_co_ci_u32_e64 v13, null, 0, v3, vcc_lo
	v_cmp_eq_u16_e32 vcc_lo, 0, v11
	s_waitcnt vmcnt(1)
	v_and_b32_e32 v11, 0x7fff, v14
	s_waitcnt vmcnt(0)
	v_and_b32_e32 v10, 0x7fff, v10
	v_cndmask_b32_e32 v2, v12, v2, vcc_lo
	v_cndmask_b32_e32 v3, v13, v3, vcc_lo
	v_add_co_u32 v12, vcc_lo, v2, 1
	v_add_co_ci_u32_e64 v13, null, 0, v3, vcc_lo
	v_cmp_eq_u16_e32 vcc_lo, 0, v11
	v_cndmask_b32_e32 v2, v12, v2, vcc_lo
	v_cndmask_b32_e32 v3, v13, v3, vcc_lo
	v_add_co_u32 v11, vcc_lo, v2, 1
	v_add_co_ci_u32_e64 v12, null, 0, v3, vcc_lo
	v_cmp_eq_u16_e32 vcc_lo, 0, v10
	v_cndmask_b32_e32 v3, v12, v3, vcc_lo
	v_cndmask_b32_e32 v2, v11, v2, vcc_lo
	v_mov_b32_e32 v17, v9
	v_mov_b32_e32 v16, v8
	;; [unrolled: 1-line block ×8, first 2 shown]
.LBB24_12:                              ;   in Loop: Header=BB24_4 Depth=1
	v_mov_b32_e32 v2, v10
	v_mov_b32_e32 v3, v11
	;; [unrolled: 1-line block ×8, first 2 shown]
	s_or_b32 exec_lo, exec_lo, s4
	s_and_saveexec_b32 s4, s1
	s_cbranch_execz .LBB24_6
.LBB24_13:                              ;   in Loop: Header=BB24_4 Depth=1
	s_andn2_b32 vcc_lo, exec_lo, s25
	s_mov_b32 s26, -1
                                        ; implicit-def: $vgpr10_vgpr11_vgpr12_vgpr13_vgpr14_vgpr15_vgpr16_vgpr17
	s_cbranch_vccnz .LBB24_15
; %bb.14:                               ;   in Loop: Header=BB24_4 Depth=1
	v_add_co_u32 v10, vcc_lo, s12, v30
	v_add_co_ci_u32_e64 v11, null, s13, v31, vcc_lo
	v_add_co_u32 v13, vcc_lo, v4, 1
	v_add_co_ci_u32_e64 v14, null, 0, v5, vcc_lo
	global_load_dwordx2 v[11:12], v[10:11], off
	v_mov_b32_e32 v16, v8
	s_mov_b32 s26, 0
	s_waitcnt vmcnt(0)
	v_and_b32_e32 v10, 0x7fff, v11
	v_and_b32_sdwa v11, v11, v41 dst_sel:DWORD dst_unused:UNUSED_PAD src0_sel:WORD_1 src1_sel:DWORD
	v_cmp_eq_u16_e32 vcc_lo, 0, v10
	v_cndmask_b32_e32 v13, v13, v4, vcc_lo
	v_cndmask_b32_e32 v10, v14, v5, vcc_lo
	v_add_co_u32 v14, vcc_lo, v13, 1
	v_add_co_ci_u32_e64 v15, null, 0, v10, vcc_lo
	v_cmp_eq_u16_e32 vcc_lo, 0, v11
	v_cndmask_b32_e32 v11, v14, v13, vcc_lo
	v_cndmask_b32_e32 v10, v15, v10, vcc_lo
	v_and_b32_e32 v13, 0x7fff, v12
	v_and_b32_sdwa v12, v12, v41 dst_sel:DWORD dst_unused:UNUSED_PAD src0_sel:WORD_1 src1_sel:DWORD
	v_add_co_u32 v14, vcc_lo, v11, 1
	v_add_co_ci_u32_e64 v15, null, 0, v10, vcc_lo
	v_cmp_eq_u16_e32 vcc_lo, 0, v13
	v_cndmask_b32_e32 v17, v14, v11, vcc_lo
	v_cndmask_b32_e32 v13, v15, v10, vcc_lo
	v_mov_b32_e32 v10, v2
	v_mov_b32_e32 v11, v3
	;; [unrolled: 1-line block ×3, first 2 shown]
	v_add_co_u32 v42, vcc_lo, v17, 1
	v_add_co_ci_u32_e64 v43, null, 0, v13, vcc_lo
	v_cmp_eq_u16_e32 vcc_lo, 0, v12
	v_mov_b32_e32 v15, v7
	v_cndmask_b32_e32 v13, v43, v13, vcc_lo
	v_cndmask_b32_e32 v12, v42, v17, vcc_lo
	v_mov_b32_e32 v17, v9
.LBB24_15:                              ;   in Loop: Header=BB24_4 Depth=1
	s_andn2_b32 vcc_lo, exec_lo, s26
	s_cbranch_vccnz .LBB24_17
; %bb.16:                               ;   in Loop: Header=BB24_4 Depth=1
	v_add_co_u32 v10, vcc_lo, s12, v39
	v_add_co_ci_u32_e64 v11, null, s13, v40, vcc_lo
	global_load_ushort v12, v[10:11], off offset:128
	v_add_co_u32 v10, vcc_lo, s12, v27
	v_add_co_ci_u32_e64 v11, null, s13, v38, vcc_lo
	global_load_ushort v13, v[10:11], off offset:128
	;; [unrolled: 3-line block ×4, first 2 shown]
	s_waitcnt vmcnt(3)
	v_and_b32_e32 v11, 0x7fff, v12
	v_add_co_u32 v12, vcc_lo, v4, 1
	v_add_co_ci_u32_e64 v15, null, 0, v5, vcc_lo
	v_cmp_eq_u16_e32 vcc_lo, 0, v11
	s_waitcnt vmcnt(2)
	v_and_b32_e32 v11, 0x7fff, v13
	v_cndmask_b32_e32 v4, v12, v4, vcc_lo
	v_cndmask_b32_e32 v5, v15, v5, vcc_lo
	v_add_co_u32 v12, vcc_lo, v4, 1
	v_add_co_ci_u32_e64 v13, null, 0, v5, vcc_lo
	v_cmp_eq_u16_e32 vcc_lo, 0, v11
	s_waitcnt vmcnt(1)
	v_and_b32_e32 v11, 0x7fff, v14
	s_waitcnt vmcnt(0)
	v_and_b32_e32 v10, 0x7fff, v10
	v_cndmask_b32_e32 v4, v12, v4, vcc_lo
	v_cndmask_b32_e32 v5, v13, v5, vcc_lo
	v_add_co_u32 v12, vcc_lo, v4, 1
	v_add_co_ci_u32_e64 v13, null, 0, v5, vcc_lo
	v_cmp_eq_u16_e32 vcc_lo, 0, v11
	v_cndmask_b32_e32 v4, v12, v4, vcc_lo
	v_cndmask_b32_e32 v5, v13, v5, vcc_lo
	v_add_co_u32 v11, vcc_lo, v4, 1
	v_add_co_ci_u32_e64 v12, null, 0, v5, vcc_lo
	v_cmp_eq_u16_e32 vcc_lo, 0, v10
	v_cndmask_b32_e32 v5, v12, v5, vcc_lo
	v_cndmask_b32_e32 v4, v11, v4, vcc_lo
	v_mov_b32_e32 v17, v9
	v_mov_b32_e32 v16, v8
	;; [unrolled: 1-line block ×8, first 2 shown]
.LBB24_17:                              ;   in Loop: Header=BB24_4 Depth=1
	v_mov_b32_e32 v2, v10
	v_mov_b32_e32 v3, v11
	;; [unrolled: 1-line block ×8, first 2 shown]
	s_or_b32 exec_lo, exec_lo, s4
	s_and_saveexec_b32 s4, s2
	s_cbranch_execz .LBB24_7
.LBB24_18:                              ;   in Loop: Header=BB24_4 Depth=1
	s_andn2_b32 vcc_lo, exec_lo, s25
	s_mov_b32 s26, -1
                                        ; implicit-def: $vgpr10_vgpr11_vgpr12_vgpr13_vgpr14_vgpr15_vgpr16_vgpr17
	s_cbranch_vccnz .LBB24_20
; %bb.19:                               ;   in Loop: Header=BB24_4 Depth=1
	v_add_co_u32 v10, vcc_lo, s12, v34
	v_add_co_ci_u32_e64 v11, null, s13, v35, vcc_lo
	v_add_co_u32 v13, vcc_lo, v6, 1
	v_add_co_ci_u32_e64 v14, null, 0, v7, vcc_lo
	global_load_dwordx2 v[11:12], v[10:11], off
	v_mov_b32_e32 v16, v8
	s_mov_b32 s26, 0
	s_waitcnt vmcnt(0)
	v_and_b32_e32 v10, 0x7fff, v11
	v_and_b32_sdwa v11, v11, v41 dst_sel:DWORD dst_unused:UNUSED_PAD src0_sel:WORD_1 src1_sel:DWORD
	v_cmp_eq_u16_e32 vcc_lo, 0, v10
	v_cndmask_b32_e32 v13, v13, v6, vcc_lo
	v_cndmask_b32_e32 v10, v14, v7, vcc_lo
	v_add_co_u32 v14, vcc_lo, v13, 1
	v_add_co_ci_u32_e64 v15, null, 0, v10, vcc_lo
	v_cmp_eq_u16_e32 vcc_lo, 0, v11
	v_cndmask_b32_e32 v11, v14, v13, vcc_lo
	v_cndmask_b32_e32 v10, v15, v10, vcc_lo
	v_and_b32_e32 v13, 0x7fff, v12
	v_and_b32_sdwa v12, v12, v41 dst_sel:DWORD dst_unused:UNUSED_PAD src0_sel:WORD_1 src1_sel:DWORD
	v_add_co_u32 v14, vcc_lo, v11, 1
	v_add_co_ci_u32_e64 v15, null, 0, v10, vcc_lo
	v_cmp_eq_u16_e32 vcc_lo, 0, v13
	v_mov_b32_e32 v13, v5
	v_cndmask_b32_e32 v14, v14, v11, vcc_lo
	v_cndmask_b32_e32 v15, v15, v10, vcc_lo
	v_mov_b32_e32 v10, v2
	v_mov_b32_e32 v11, v3
	v_add_co_u32 v17, vcc_lo, v14, 1
	v_add_co_ci_u32_e64 v42, null, 0, v15, vcc_lo
	v_cmp_eq_u16_e32 vcc_lo, 0, v12
	v_mov_b32_e32 v12, v4
	v_cndmask_b32_e32 v15, v42, v15, vcc_lo
	v_cndmask_b32_e32 v14, v17, v14, vcc_lo
	v_mov_b32_e32 v17, v9
.LBB24_20:                              ;   in Loop: Header=BB24_4 Depth=1
	s_andn2_b32 vcc_lo, exec_lo, s26
	s_cbranch_vccnz .LBB24_22
; %bb.21:                               ;   in Loop: Header=BB24_4 Depth=1
	v_add_co_u32 v10, vcc_lo, s12, v39
	v_add_co_ci_u32_e64 v11, null, s13, v40, vcc_lo
	global_load_ushort v12, v[10:11], off offset:256
	v_add_co_u32 v10, vcc_lo, s12, v27
	v_add_co_ci_u32_e64 v11, null, s13, v38, vcc_lo
	global_load_ushort v13, v[10:11], off offset:256
	v_add_co_u32 v10, vcc_lo, s12, v25
	v_add_co_ci_u32_e64 v11, null, s13, v37, vcc_lo
	global_load_ushort v14, v[10:11], off offset:256
	v_add_co_u32 v10, vcc_lo, s12, v1
	v_add_co_ci_u32_e64 v11, null, s13, v36, vcc_lo
	global_load_ushort v10, v[10:11], off offset:256
	s_waitcnt vmcnt(3)
	v_and_b32_e32 v11, 0x7fff, v12
	v_add_co_u32 v12, vcc_lo, v6, 1
	v_add_co_ci_u32_e64 v15, null, 0, v7, vcc_lo
	v_cmp_eq_u16_e32 vcc_lo, 0, v11
	s_waitcnt vmcnt(2)
	v_and_b32_e32 v11, 0x7fff, v13
	v_cndmask_b32_e32 v6, v12, v6, vcc_lo
	v_cndmask_b32_e32 v7, v15, v7, vcc_lo
	v_add_co_u32 v12, vcc_lo, v6, 1
	v_add_co_ci_u32_e64 v13, null, 0, v7, vcc_lo
	v_cmp_eq_u16_e32 vcc_lo, 0, v11
	s_waitcnt vmcnt(1)
	v_and_b32_e32 v11, 0x7fff, v14
	s_waitcnt vmcnt(0)
	v_and_b32_e32 v10, 0x7fff, v10
	v_cndmask_b32_e32 v6, v12, v6, vcc_lo
	v_cndmask_b32_e32 v7, v13, v7, vcc_lo
	v_add_co_u32 v12, vcc_lo, v6, 1
	v_add_co_ci_u32_e64 v13, null, 0, v7, vcc_lo
	v_cmp_eq_u16_e32 vcc_lo, 0, v11
	v_cndmask_b32_e32 v6, v12, v6, vcc_lo
	v_cndmask_b32_e32 v7, v13, v7, vcc_lo
	v_add_co_u32 v11, vcc_lo, v6, 1
	v_add_co_ci_u32_e64 v12, null, 0, v7, vcc_lo
	v_cmp_eq_u16_e32 vcc_lo, 0, v10
	v_cndmask_b32_e32 v7, v12, v7, vcc_lo
	v_cndmask_b32_e32 v6, v11, v6, vcc_lo
	v_mov_b32_e32 v17, v9
	v_mov_b32_e32 v16, v8
	;; [unrolled: 1-line block ×8, first 2 shown]
.LBB24_22:                              ;   in Loop: Header=BB24_4 Depth=1
	v_mov_b32_e32 v2, v10
	v_mov_b32_e32 v3, v11
	;; [unrolled: 1-line block ×8, first 2 shown]
	s_or_b32 exec_lo, exec_lo, s4
	s_and_saveexec_b32 s4, s3
	s_cbranch_execz .LBB24_3
.LBB24_23:                              ;   in Loop: Header=BB24_4 Depth=1
	s_andn2_b32 vcc_lo, exec_lo, s25
	s_mov_b32 s26, -1
                                        ; implicit-def: $vgpr10_vgpr11_vgpr12_vgpr13_vgpr14_vgpr15_vgpr16_vgpr17
	s_cbranch_vccnz .LBB24_25
; %bb.24:                               ;   in Loop: Header=BB24_4 Depth=1
	v_add_co_u32 v10, vcc_lo, s12, v26
	v_add_co_ci_u32_e64 v11, null, s13, v28, vcc_lo
	v_add_co_u32 v13, vcc_lo, v8, 1
	v_add_co_ci_u32_e64 v14, null, 0, v9, vcc_lo
	global_load_dwordx2 v[11:12], v[10:11], off
	s_mov_b32 s26, 0
	s_waitcnt vmcnt(0)
	v_and_b32_e32 v10, 0x7fff, v11
	v_and_b32_sdwa v11, v11, v41 dst_sel:DWORD dst_unused:UNUSED_PAD src0_sel:WORD_1 src1_sel:DWORD
	v_cmp_eq_u16_e32 vcc_lo, 0, v10
	v_cndmask_b32_e32 v13, v13, v8, vcc_lo
	v_cndmask_b32_e32 v10, v14, v9, vcc_lo
	v_add_co_u32 v14, vcc_lo, v13, 1
	v_add_co_ci_u32_e64 v15, null, 0, v10, vcc_lo
	v_cmp_eq_u16_e32 vcc_lo, 0, v11
	v_cndmask_b32_e32 v11, v14, v13, vcc_lo
	v_cndmask_b32_e32 v10, v15, v10, vcc_lo
	v_and_b32_e32 v13, 0x7fff, v12
	v_and_b32_sdwa v12, v12, v41 dst_sel:DWORD dst_unused:UNUSED_PAD src0_sel:WORD_1 src1_sel:DWORD
	v_add_co_u32 v14, vcc_lo, v11, 1
	v_add_co_ci_u32_e64 v15, null, 0, v10, vcc_lo
	v_cmp_eq_u16_e32 vcc_lo, 0, v13
	v_mov_b32_e32 v13, v5
	v_cndmask_b32_e32 v16, v14, v11, vcc_lo
	v_cndmask_b32_e32 v15, v15, v10, vcc_lo
	v_mov_b32_e32 v10, v2
	v_mov_b32_e32 v11, v3
	;; [unrolled: 1-line block ×3, first 2 shown]
	v_add_co_u32 v42, vcc_lo, v16, 1
	v_add_co_ci_u32_e64 v17, null, 0, v15, vcc_lo
	v_cmp_eq_u16_e32 vcc_lo, 0, v12
	v_mov_b32_e32 v12, v4
	v_cndmask_b32_e32 v17, v17, v15, vcc_lo
	v_cndmask_b32_e32 v16, v42, v16, vcc_lo
	v_mov_b32_e32 v15, v7
.LBB24_25:                              ;   in Loop: Header=BB24_4 Depth=1
	s_andn2_b32 vcc_lo, exec_lo, s26
	s_cbranch_vccnz .LBB24_2
; %bb.26:                               ;   in Loop: Header=BB24_4 Depth=1
	v_add_co_u32 v10, vcc_lo, s12, v39
	v_add_co_ci_u32_e64 v11, null, s13, v40, vcc_lo
	global_load_ushort v12, v[10:11], off offset:384
	v_add_co_u32 v10, vcc_lo, s12, v27
	v_add_co_ci_u32_e64 v11, null, s13, v38, vcc_lo
	global_load_ushort v13, v[10:11], off offset:384
	;; [unrolled: 3-line block ×4, first 2 shown]
	s_waitcnt vmcnt(3)
	v_and_b32_e32 v11, 0x7fff, v12
	v_add_co_u32 v12, vcc_lo, v8, 1
	v_add_co_ci_u32_e64 v15, null, 0, v9, vcc_lo
	v_cmp_eq_u16_e32 vcc_lo, 0, v11
	s_waitcnt vmcnt(2)
	v_and_b32_e32 v11, 0x7fff, v13
	v_cndmask_b32_e32 v8, v12, v8, vcc_lo
	v_cndmask_b32_e32 v9, v15, v9, vcc_lo
	v_add_co_u32 v12, vcc_lo, v8, 1
	v_add_co_ci_u32_e64 v13, null, 0, v9, vcc_lo
	v_cmp_eq_u16_e32 vcc_lo, 0, v11
	s_waitcnt vmcnt(1)
	v_and_b32_e32 v11, 0x7fff, v14
	s_waitcnt vmcnt(0)
	v_and_b32_e32 v10, 0x7fff, v10
	v_cndmask_b32_e32 v8, v12, v8, vcc_lo
	v_cndmask_b32_e32 v9, v13, v9, vcc_lo
	v_add_co_u32 v12, vcc_lo, v8, 1
	v_add_co_ci_u32_e64 v13, null, 0, v9, vcc_lo
	v_cmp_eq_u16_e32 vcc_lo, 0, v11
	v_cndmask_b32_e32 v8, v12, v8, vcc_lo
	v_cndmask_b32_e32 v9, v13, v9, vcc_lo
	v_add_co_u32 v11, vcc_lo, v8, 1
	v_add_co_ci_u32_e64 v12, null, 0, v9, vcc_lo
	v_cmp_eq_u16_e32 vcc_lo, 0, v10
	v_cndmask_b32_e32 v9, v12, v9, vcc_lo
	v_cndmask_b32_e32 v8, v11, v8, vcc_lo
	v_mov_b32_e32 v17, v9
	v_mov_b32_e32 v16, v8
	;; [unrolled: 1-line block ×8, first 2 shown]
	s_branch .LBB24_2
.LBB24_27:
	s_or_b32 exec_lo, exec_lo, s24
.LBB24_28:
	s_or_b32 exec_lo, exec_lo, s23
	v_cmp_lt_i64_e64 s0, s[6:7], 1
	s_and_b32 vcc_lo, exec_lo, s0
	s_cbranch_vccnz .LBB24_134
; %bb.29:
	v_lshlrev_b64 v[10:11], 1, v[18:19]
	v_lshlrev_b64 v[26:27], 1, v[20:21]
	s_cmp_lg_u32 s22, 1
	s_mov_b32 s2, exec_lo
	s_cselect_b32 s1, -1, 0
	v_add_co_u32 v34, s0, s12, v10
	v_add_co_ci_u32_e64 v35, null, s13, v11, s0
	v_cmpx_gt_i64_e64 s[8:9], v[20:21]
	s_cbranch_execz .LBB24_55
; %bb.30:
	v_mad_u64_u32 v[10:11], null, v20, s14, 0
	v_mov_b32_e32 v1, v11
	v_mad_u64_u32 v[11:12], null, v20, s15, v[1:2]
	v_lshlrev_b64 v[10:11], 1, v[10:11]
	v_add_co_u32 v28, s0, v34, v10
	v_add_co_ci_u32_e64 v29, null, v35, v11, s0
	v_add_co_u32 v1, s0, s12, v26
	v_add_co_ci_u32_e64 v20, null, s13, v27, s0
	s_mov_b32 s0, exec_lo
	v_cmpx_gt_i64_e64 s[10:11], v[18:19]
	s_cbranch_execz .LBB24_36
; %bb.31:
	s_and_b32 vcc_lo, exec_lo, s1
	s_cbranch_vccz .LBB24_33
; %bb.32:
	global_load_ushort v10, v[28:29], off
	s_waitcnt vmcnt(0)
	v_and_b32_e32 v10, 0x7fff, v10
	v_cmp_ne_u16_e32 vcc_lo, 0, v10
	v_cndmask_b32_e64 v10, 0, 1, vcc_lo
	v_add_co_u32 v23, vcc_lo, v2, v10
	v_add_co_ci_u32_e64 v25, null, 0, v3, vcc_lo
	v_mov_b32_e32 v17, v9
	v_mov_b32_e32 v11, v3
	;; [unrolled: 1-line block ×10, first 2 shown]
	s_cbranch_execz .LBB24_34
	s_branch .LBB24_35
.LBB24_33:
                                        ; implicit-def: $vgpr10_vgpr11_vgpr12_vgpr13_vgpr14_vgpr15_vgpr16_vgpr17
.LBB24_34:
	v_mul_lo_u32 v12, v19, s14
	v_mul_lo_u32 v13, v18, s15
	v_mad_u64_u32 v[10:11], null, v18, s14, 0
	v_add3_u32 v11, v11, v13, v12
	v_lshlrev_b64 v[10:11], 1, v[10:11]
	v_add_co_u32 v10, vcc_lo, v1, v10
	v_add_co_ci_u32_e64 v11, null, v20, v11, vcc_lo
	global_load_ushort v10, v[10:11], off
	s_waitcnt vmcnt(0)
	v_and_b32_e32 v10, 0x7fff, v10
	v_cmp_ne_u16_e32 vcc_lo, 0, v10
	v_cndmask_b32_e64 v10, 0, 1, vcc_lo
	v_add_co_u32 v2, vcc_lo, v2, v10
	v_add_co_ci_u32_e64 v3, null, 0, v3, vcc_lo
	v_mov_b32_e32 v17, v9
	v_mov_b32_e32 v16, v8
	;; [unrolled: 1-line block ×8, first 2 shown]
.LBB24_35:
	v_mov_b32_e32 v2, v10
	v_mov_b32_e32 v3, v11
	;; [unrolled: 1-line block ×8, first 2 shown]
.LBB24_36:
	s_or_b32 exec_lo, exec_lo, s0
	v_or_b32_e32 v30, 1, v18
	v_mov_b32_e32 v31, v19
	s_mov_b32 s0, exec_lo
	v_cmpx_gt_i64_e64 s[10:11], v[30:31]
	s_cbranch_execz .LBB24_42
; %bb.37:
	s_andn2_b32 vcc_lo, exec_lo, s1
	s_cbranch_vccnz .LBB24_39
; %bb.38:
	global_load_ushort v10, v[28:29], off offset:2
	s_waitcnt vmcnt(0)
	v_and_b32_e32 v10, 0x7fff, v10
	v_cmp_ne_u16_e32 vcc_lo, 0, v10
	v_cndmask_b32_e64 v10, 0, 1, vcc_lo
	v_add_co_u32 v23, vcc_lo, v2, v10
	v_add_co_ci_u32_e64 v25, null, 0, v3, vcc_lo
	v_mov_b32_e32 v17, v9
	v_mov_b32_e32 v11, v3
	v_mov_b32_e32 v10, v2
	v_mov_b32_e32 v16, v8
	v_mov_b32_e32 v15, v7
	v_mov_b32_e32 v14, v6
	v_mov_b32_e32 v13, v5
	v_mov_b32_e32 v12, v4
	v_mov_b32_e32 v10, v23
	v_mov_b32_e32 v11, v25
	s_cbranch_execz .LBB24_40
	s_branch .LBB24_41
.LBB24_39:
                                        ; implicit-def: $vgpr10_vgpr11_vgpr12_vgpr13_vgpr14_vgpr15_vgpr16_vgpr17
.LBB24_40:
	v_mul_lo_u32 v12, v31, s14
	v_mul_lo_u32 v13, v30, s15
	v_mad_u64_u32 v[10:11], null, v30, s14, 0
	v_add3_u32 v11, v11, v13, v12
	v_lshlrev_b64 v[10:11], 1, v[10:11]
	v_add_co_u32 v10, vcc_lo, v1, v10
	v_add_co_ci_u32_e64 v11, null, v20, v11, vcc_lo
	global_load_ushort v10, v[10:11], off
	s_waitcnt vmcnt(0)
	v_and_b32_e32 v10, 0x7fff, v10
	v_cmp_ne_u16_e32 vcc_lo, 0, v10
	v_cndmask_b32_e64 v10, 0, 1, vcc_lo
	v_add_co_u32 v2, vcc_lo, v2, v10
	v_add_co_ci_u32_e64 v3, null, 0, v3, vcc_lo
	v_mov_b32_e32 v17, v9
	v_mov_b32_e32 v16, v8
	v_mov_b32_e32 v15, v7
	v_mov_b32_e32 v14, v6
	v_mov_b32_e32 v13, v5
	v_mov_b32_e32 v12, v4
	v_mov_b32_e32 v11, v3
	v_mov_b32_e32 v10, v2
.LBB24_41:
	v_mov_b32_e32 v2, v10
	v_mov_b32_e32 v3, v11
	v_mov_b32_e32 v4, v12
	v_mov_b32_e32 v5, v13
	v_mov_b32_e32 v6, v14
	v_mov_b32_e32 v7, v15
	v_mov_b32_e32 v8, v16
	v_mov_b32_e32 v9, v17
.LBB24_42:
	s_or_b32 exec_lo, exec_lo, s0
	v_or_b32_e32 v30, 2, v18
	v_mov_b32_e32 v31, v19
	s_mov_b32 s0, exec_lo
	v_cmpx_gt_i64_e64 s[10:11], v[30:31]
	s_cbranch_execz .LBB24_48
; %bb.43:
	s_andn2_b32 vcc_lo, exec_lo, s1
	s_cbranch_vccnz .LBB24_45
; %bb.44:
	global_load_ushort v10, v[28:29], off offset:4
	s_waitcnt vmcnt(0)
	v_and_b32_e32 v10, 0x7fff, v10
	v_cmp_ne_u16_e32 vcc_lo, 0, v10
	v_cndmask_b32_e64 v10, 0, 1, vcc_lo
	v_add_co_u32 v23, vcc_lo, v2, v10
	v_add_co_ci_u32_e64 v25, null, 0, v3, vcc_lo
	v_mov_b32_e32 v17, v9
	v_mov_b32_e32 v11, v3
	v_mov_b32_e32 v10, v2
	v_mov_b32_e32 v16, v8
	v_mov_b32_e32 v15, v7
	v_mov_b32_e32 v14, v6
	v_mov_b32_e32 v13, v5
	v_mov_b32_e32 v12, v4
	v_mov_b32_e32 v10, v23
	v_mov_b32_e32 v11, v25
	s_cbranch_execz .LBB24_46
	s_branch .LBB24_47
.LBB24_45:
                                        ; implicit-def: $vgpr10_vgpr11_vgpr12_vgpr13_vgpr14_vgpr15_vgpr16_vgpr17
.LBB24_46:
	v_mul_lo_u32 v12, v31, s14
	v_mul_lo_u32 v13, v30, s15
	v_mad_u64_u32 v[10:11], null, v30, s14, 0
	v_add3_u32 v11, v11, v13, v12
	v_lshlrev_b64 v[10:11], 1, v[10:11]
	v_add_co_u32 v10, vcc_lo, v1, v10
	v_add_co_ci_u32_e64 v11, null, v20, v11, vcc_lo
	global_load_ushort v10, v[10:11], off
	s_waitcnt vmcnt(0)
	v_and_b32_e32 v10, 0x7fff, v10
	v_cmp_ne_u16_e32 vcc_lo, 0, v10
	v_cndmask_b32_e64 v10, 0, 1, vcc_lo
	v_add_co_u32 v2, vcc_lo, v2, v10
	v_add_co_ci_u32_e64 v3, null, 0, v3, vcc_lo
	v_mov_b32_e32 v17, v9
	v_mov_b32_e32 v16, v8
	v_mov_b32_e32 v15, v7
	v_mov_b32_e32 v14, v6
	v_mov_b32_e32 v13, v5
	v_mov_b32_e32 v12, v4
	v_mov_b32_e32 v11, v3
	v_mov_b32_e32 v10, v2
.LBB24_47:
	v_mov_b32_e32 v2, v10
	v_mov_b32_e32 v3, v11
	v_mov_b32_e32 v4, v12
	v_mov_b32_e32 v5, v13
	v_mov_b32_e32 v6, v14
	v_mov_b32_e32 v7, v15
	v_mov_b32_e32 v8, v16
	v_mov_b32_e32 v9, v17
.LBB24_48:
	;; [unrolled: 64-line block ×3, first 2 shown]
	s_or_b32 exec_lo, exec_lo, s0
.LBB24_55:
	s_or_b32 exec_lo, exec_lo, s2
	v_mov_b32_e32 v25, v21
	s_mov_b32 s2, exec_lo
	v_cmpx_gt_i64_e64 s[8:9], v[24:25]
	s_cbranch_execz .LBB24_81
; %bb.56:
	v_mad_u64_u32 v[10:11], null, v24, s14, 0
	v_mov_b32_e32 v1, v11
	v_mad_u64_u32 v[11:12], null, v24, s15, v[1:2]
	v_lshlrev_b64 v[10:11], 1, v[10:11]
	v_add_co_u32 v23, s0, v34, v10
	v_add_co_ci_u32_e64 v24, null, v35, v11, s0
	v_add_co_u32 v1, s0, s12, v26
	v_add_co_ci_u32_e64 v20, null, s13, v27, s0
	s_mov_b32 s0, exec_lo
	v_cmpx_gt_i64_e64 s[10:11], v[18:19]
	s_cbranch_execz .LBB24_62
; %bb.57:
	s_andn2_b32 vcc_lo, exec_lo, s1
	s_cbranch_vccnz .LBB24_59
; %bb.58:
	global_load_ushort v10, v[23:24], off
	s_waitcnt vmcnt(0)
	v_and_b32_e32 v10, 0x7fff, v10
	v_cmp_ne_u16_e32 vcc_lo, 0, v10
	v_cndmask_b32_e64 v10, 0, 1, vcc_lo
	v_add_co_u32 v25, vcc_lo, v4, v10
	v_add_co_ci_u32_e64 v28, null, 0, v5, vcc_lo
	v_mov_b32_e32 v17, v9
	v_mov_b32_e32 v13, v5
	;; [unrolled: 1-line block ×10, first 2 shown]
	s_cbranch_execz .LBB24_60
	s_branch .LBB24_61
.LBB24_59:
                                        ; implicit-def: $vgpr10_vgpr11_vgpr12_vgpr13_vgpr14_vgpr15_vgpr16_vgpr17
.LBB24_60:
	v_mul_lo_u32 v12, v19, s14
	v_mul_lo_u32 v13, v18, s15
	v_mad_u64_u32 v[10:11], null, v18, s14, 0
	v_add3_u32 v11, v11, v13, v12
	v_lshlrev_b64 v[10:11], 1, v[10:11]
	v_add_co_u32 v10, vcc_lo, v1, v10
	v_add_co_ci_u32_e64 v11, null, v20, v11, vcc_lo
	global_load_ushort v10, v[10:11], off offset:128
	s_waitcnt vmcnt(0)
	v_and_b32_e32 v10, 0x7fff, v10
	v_cmp_ne_u16_e32 vcc_lo, 0, v10
	v_cndmask_b32_e64 v10, 0, 1, vcc_lo
	v_add_co_u32 v4, vcc_lo, v4, v10
	v_add_co_ci_u32_e64 v5, null, 0, v5, vcc_lo
	v_mov_b32_e32 v17, v9
	v_mov_b32_e32 v16, v8
	;; [unrolled: 1-line block ×8, first 2 shown]
.LBB24_61:
	v_mov_b32_e32 v2, v10
	v_mov_b32_e32 v3, v11
	v_mov_b32_e32 v4, v12
	v_mov_b32_e32 v5, v13
	v_mov_b32_e32 v6, v14
	v_mov_b32_e32 v7, v15
	v_mov_b32_e32 v8, v16
	v_mov_b32_e32 v9, v17
.LBB24_62:
	s_or_b32 exec_lo, exec_lo, s0
	v_or_b32_e32 v28, 1, v18
	v_mov_b32_e32 v29, v19
	s_mov_b32 s0, exec_lo
	v_cmpx_gt_i64_e64 s[10:11], v[28:29]
	s_cbranch_execz .LBB24_68
; %bb.63:
	s_andn2_b32 vcc_lo, exec_lo, s1
	s_cbranch_vccnz .LBB24_65
; %bb.64:
	global_load_ushort v10, v[23:24], off offset:2
	s_waitcnt vmcnt(0)
	v_and_b32_e32 v10, 0x7fff, v10
	v_cmp_ne_u16_e32 vcc_lo, 0, v10
	v_cndmask_b32_e64 v10, 0, 1, vcc_lo
	v_add_co_u32 v25, vcc_lo, v4, v10
	v_add_co_ci_u32_e64 v30, null, 0, v5, vcc_lo
	v_mov_b32_e32 v17, v9
	v_mov_b32_e32 v13, v5
	v_mov_b32_e32 v12, v4
	v_mov_b32_e32 v16, v8
	v_mov_b32_e32 v15, v7
	v_mov_b32_e32 v14, v6
	v_mov_b32_e32 v11, v3
	v_mov_b32_e32 v10, v2
	v_mov_b32_e32 v12, v25
	v_mov_b32_e32 v13, v30
	s_cbranch_execz .LBB24_66
	s_branch .LBB24_67
.LBB24_65:
                                        ; implicit-def: $vgpr10_vgpr11_vgpr12_vgpr13_vgpr14_vgpr15_vgpr16_vgpr17
.LBB24_66:
	v_mul_lo_u32 v12, v29, s14
	v_mul_lo_u32 v13, v28, s15
	v_mad_u64_u32 v[10:11], null, v28, s14, 0
	v_add3_u32 v11, v11, v13, v12
	v_lshlrev_b64 v[10:11], 1, v[10:11]
	v_add_co_u32 v10, vcc_lo, v1, v10
	v_add_co_ci_u32_e64 v11, null, v20, v11, vcc_lo
	global_load_ushort v10, v[10:11], off offset:128
	s_waitcnt vmcnt(0)
	v_and_b32_e32 v10, 0x7fff, v10
	v_cmp_ne_u16_e32 vcc_lo, 0, v10
	v_cndmask_b32_e64 v10, 0, 1, vcc_lo
	v_add_co_u32 v4, vcc_lo, v4, v10
	v_add_co_ci_u32_e64 v5, null, 0, v5, vcc_lo
	v_mov_b32_e32 v17, v9
	v_mov_b32_e32 v16, v8
	v_mov_b32_e32 v15, v7
	v_mov_b32_e32 v14, v6
	v_mov_b32_e32 v13, v5
	v_mov_b32_e32 v12, v4
	v_mov_b32_e32 v11, v3
	v_mov_b32_e32 v10, v2
.LBB24_67:
	v_mov_b32_e32 v2, v10
	v_mov_b32_e32 v3, v11
	v_mov_b32_e32 v4, v12
	v_mov_b32_e32 v5, v13
	v_mov_b32_e32 v6, v14
	v_mov_b32_e32 v7, v15
	v_mov_b32_e32 v8, v16
	v_mov_b32_e32 v9, v17
.LBB24_68:
	s_or_b32 exec_lo, exec_lo, s0
	v_or_b32_e32 v28, 2, v18
	v_mov_b32_e32 v29, v19
	s_mov_b32 s0, exec_lo
	v_cmpx_gt_i64_e64 s[10:11], v[28:29]
	s_cbranch_execz .LBB24_74
; %bb.69:
	s_andn2_b32 vcc_lo, exec_lo, s1
	s_cbranch_vccnz .LBB24_71
; %bb.70:
	global_load_ushort v10, v[23:24], off offset:4
	s_waitcnt vmcnt(0)
	v_and_b32_e32 v10, 0x7fff, v10
	v_cmp_ne_u16_e32 vcc_lo, 0, v10
	v_cndmask_b32_e64 v10, 0, 1, vcc_lo
	v_add_co_u32 v25, vcc_lo, v4, v10
	v_add_co_ci_u32_e64 v30, null, 0, v5, vcc_lo
	v_mov_b32_e32 v17, v9
	v_mov_b32_e32 v13, v5
	v_mov_b32_e32 v12, v4
	v_mov_b32_e32 v16, v8
	v_mov_b32_e32 v15, v7
	v_mov_b32_e32 v14, v6
	v_mov_b32_e32 v11, v3
	v_mov_b32_e32 v10, v2
	v_mov_b32_e32 v12, v25
	v_mov_b32_e32 v13, v30
	s_cbranch_execz .LBB24_72
	s_branch .LBB24_73
.LBB24_71:
                                        ; implicit-def: $vgpr10_vgpr11_vgpr12_vgpr13_vgpr14_vgpr15_vgpr16_vgpr17
.LBB24_72:
	v_mul_lo_u32 v12, v29, s14
	v_mul_lo_u32 v13, v28, s15
	v_mad_u64_u32 v[10:11], null, v28, s14, 0
	v_add3_u32 v11, v11, v13, v12
	v_lshlrev_b64 v[10:11], 1, v[10:11]
	v_add_co_u32 v10, vcc_lo, v1, v10
	v_add_co_ci_u32_e64 v11, null, v20, v11, vcc_lo
	global_load_ushort v10, v[10:11], off offset:128
	s_waitcnt vmcnt(0)
	v_and_b32_e32 v10, 0x7fff, v10
	v_cmp_ne_u16_e32 vcc_lo, 0, v10
	v_cndmask_b32_e64 v10, 0, 1, vcc_lo
	v_add_co_u32 v4, vcc_lo, v4, v10
	v_add_co_ci_u32_e64 v5, null, 0, v5, vcc_lo
	v_mov_b32_e32 v17, v9
	v_mov_b32_e32 v16, v8
	v_mov_b32_e32 v15, v7
	v_mov_b32_e32 v14, v6
	v_mov_b32_e32 v13, v5
	v_mov_b32_e32 v12, v4
	v_mov_b32_e32 v11, v3
	v_mov_b32_e32 v10, v2
.LBB24_73:
	v_mov_b32_e32 v2, v10
	v_mov_b32_e32 v3, v11
	v_mov_b32_e32 v4, v12
	v_mov_b32_e32 v5, v13
	v_mov_b32_e32 v6, v14
	v_mov_b32_e32 v7, v15
	v_mov_b32_e32 v8, v16
	v_mov_b32_e32 v9, v17
.LBB24_74:
	s_or_b32 exec_lo, exec_lo, s0
	v_or_b32_e32 v28, 3, v18
	v_mov_b32_e32 v29, v19
	s_mov_b32 s0, exec_lo
	v_cmpx_gt_i64_e64 s[10:11], v[28:29]
	s_cbranch_execz .LBB24_80
; %bb.75:
	s_andn2_b32 vcc_lo, exec_lo, s1
	s_cbranch_vccnz .LBB24_77
; %bb.76:
	global_load_ushort v10, v[23:24], off offset:6
	s_waitcnt vmcnt(0)
	v_and_b32_e32 v10, 0x7fff, v10
	v_cmp_ne_u16_e32 vcc_lo, 0, v10
	v_cndmask_b32_e64 v10, 0, 1, vcc_lo
	v_add_co_u32 v23, vcc_lo, v4, v10
	v_add_co_ci_u32_e64 v24, null, 0, v5, vcc_lo
	v_mov_b32_e32 v17, v9
	v_mov_b32_e32 v13, v5
	v_mov_b32_e32 v12, v4
	v_mov_b32_e32 v16, v8
	v_mov_b32_e32 v15, v7
	v_mov_b32_e32 v14, v6
	v_mov_b32_e32 v11, v3
	v_mov_b32_e32 v10, v2
	v_mov_b32_e32 v12, v23
	v_mov_b32_e32 v13, v24
	s_cbranch_execz .LBB24_78
	s_branch .LBB24_79
.LBB24_77:
                                        ; implicit-def: $vgpr10_vgpr11_vgpr12_vgpr13_vgpr14_vgpr15_vgpr16_vgpr17
.LBB24_78:
	v_mul_lo_u32 v12, v29, s14
	v_mul_lo_u32 v13, v28, s15
	v_mad_u64_u32 v[10:11], null, v28, s14, 0
	v_add3_u32 v11, v11, v13, v12
	v_lshlrev_b64 v[10:11], 1, v[10:11]
	v_add_co_u32 v10, vcc_lo, v1, v10
	v_add_co_ci_u32_e64 v11, null, v20, v11, vcc_lo
	global_load_ushort v1, v[10:11], off offset:128
	s_waitcnt vmcnt(0)
	v_and_b32_e32 v1, 0x7fff, v1
	v_cmp_ne_u16_e32 vcc_lo, 0, v1
	v_cndmask_b32_e64 v1, 0, 1, vcc_lo
	v_add_co_u32 v4, vcc_lo, v4, v1
	v_add_co_ci_u32_e64 v5, null, 0, v5, vcc_lo
	v_mov_b32_e32 v17, v9
	v_mov_b32_e32 v16, v8
	v_mov_b32_e32 v15, v7
	v_mov_b32_e32 v14, v6
	v_mov_b32_e32 v13, v5
	v_mov_b32_e32 v12, v4
	v_mov_b32_e32 v11, v3
	v_mov_b32_e32 v10, v2
.LBB24_79:
	v_mov_b32_e32 v2, v10
	v_mov_b32_e32 v3, v11
	v_mov_b32_e32 v4, v12
	v_mov_b32_e32 v5, v13
	v_mov_b32_e32 v6, v14
	v_mov_b32_e32 v7, v15
	v_mov_b32_e32 v8, v16
	v_mov_b32_e32 v9, v17
.LBB24_80:
	s_or_b32 exec_lo, exec_lo, s0
.LBB24_81:
	s_or_b32 exec_lo, exec_lo, s2
	v_mov_b32_e32 v23, v21
	s_mov_b32 s2, exec_lo
	v_cmpx_gt_i64_e64 s[8:9], v[22:23]
	s_cbranch_execz .LBB24_107
; %bb.82:
	v_mad_u64_u32 v[10:11], null, v22, s14, 0
	v_mov_b32_e32 v1, v11
	v_mad_u64_u32 v[11:12], null, v22, s15, v[1:2]
	v_lshlrev_b64 v[10:11], 1, v[10:11]
	v_add_co_u32 v22, s0, v34, v10
	v_add_co_ci_u32_e64 v23, null, v35, v11, s0
	v_add_co_u32 v1, s0, s12, v26
	v_add_co_ci_u32_e64 v20, null, s13, v27, s0
	s_mov_b32 s0, exec_lo
	v_cmpx_gt_i64_e64 s[10:11], v[18:19]
	s_cbranch_execz .LBB24_88
; %bb.83:
	s_andn2_b32 vcc_lo, exec_lo, s1
	s_cbranch_vccnz .LBB24_85
; %bb.84:
	global_load_ushort v10, v[22:23], off
	s_waitcnt vmcnt(0)
	v_and_b32_e32 v10, 0x7fff, v10
	v_cmp_ne_u16_e32 vcc_lo, 0, v10
	v_cndmask_b32_e64 v10, 0, 1, vcc_lo
	v_add_co_u32 v24, vcc_lo, v6, v10
	v_add_co_ci_u32_e64 v25, null, 0, v7, vcc_lo
	v_mov_b32_e32 v17, v9
	v_mov_b32_e32 v15, v7
	;; [unrolled: 1-line block ×10, first 2 shown]
	s_cbranch_execz .LBB24_86
	s_branch .LBB24_87
.LBB24_85:
                                        ; implicit-def: $vgpr10_vgpr11_vgpr12_vgpr13_vgpr14_vgpr15_vgpr16_vgpr17
.LBB24_86:
	v_mul_lo_u32 v12, v19, s14
	v_mul_lo_u32 v13, v18, s15
	v_mad_u64_u32 v[10:11], null, v18, s14, 0
	v_add3_u32 v11, v11, v13, v12
	v_lshlrev_b64 v[10:11], 1, v[10:11]
	v_add_co_u32 v10, vcc_lo, v1, v10
	v_add_co_ci_u32_e64 v11, null, v20, v11, vcc_lo
	global_load_ushort v10, v[10:11], off offset:256
	s_waitcnt vmcnt(0)
	v_and_b32_e32 v10, 0x7fff, v10
	v_cmp_ne_u16_e32 vcc_lo, 0, v10
	v_cndmask_b32_e64 v10, 0, 1, vcc_lo
	v_add_co_u32 v6, vcc_lo, v6, v10
	v_add_co_ci_u32_e64 v7, null, 0, v7, vcc_lo
	v_mov_b32_e32 v17, v9
	v_mov_b32_e32 v16, v8
	;; [unrolled: 1-line block ×8, first 2 shown]
.LBB24_87:
	v_mov_b32_e32 v2, v10
	v_mov_b32_e32 v3, v11
	;; [unrolled: 1-line block ×8, first 2 shown]
.LBB24_88:
	s_or_b32 exec_lo, exec_lo, s0
	v_or_b32_e32 v24, 1, v18
	v_mov_b32_e32 v25, v19
	s_mov_b32 s0, exec_lo
	v_cmpx_gt_i64_e64 s[10:11], v[24:25]
	s_cbranch_execz .LBB24_94
; %bb.89:
	s_andn2_b32 vcc_lo, exec_lo, s1
	s_cbranch_vccnz .LBB24_91
; %bb.90:
	global_load_ushort v10, v[22:23], off offset:2
	s_waitcnt vmcnt(0)
	v_and_b32_e32 v10, 0x7fff, v10
	v_cmp_ne_u16_e32 vcc_lo, 0, v10
	v_cndmask_b32_e64 v10, 0, 1, vcc_lo
	v_add_co_u32 v28, vcc_lo, v6, v10
	v_add_co_ci_u32_e64 v29, null, 0, v7, vcc_lo
	v_mov_b32_e32 v17, v9
	v_mov_b32_e32 v15, v7
	v_mov_b32_e32 v14, v6
	v_mov_b32_e32 v16, v8
	v_mov_b32_e32 v13, v5
	v_mov_b32_e32 v12, v4
	v_mov_b32_e32 v11, v3
	v_mov_b32_e32 v10, v2
	v_mov_b32_e32 v14, v28
	v_mov_b32_e32 v15, v29
	s_cbranch_execz .LBB24_92
	s_branch .LBB24_93
.LBB24_91:
                                        ; implicit-def: $vgpr10_vgpr11_vgpr12_vgpr13_vgpr14_vgpr15_vgpr16_vgpr17
.LBB24_92:
	v_mul_lo_u32 v12, v25, s14
	v_mul_lo_u32 v13, v24, s15
	v_mad_u64_u32 v[10:11], null, v24, s14, 0
	v_add3_u32 v11, v11, v13, v12
	v_lshlrev_b64 v[10:11], 1, v[10:11]
	v_add_co_u32 v10, vcc_lo, v1, v10
	v_add_co_ci_u32_e64 v11, null, v20, v11, vcc_lo
	global_load_ushort v10, v[10:11], off offset:256
	s_waitcnt vmcnt(0)
	v_and_b32_e32 v10, 0x7fff, v10
	v_cmp_ne_u16_e32 vcc_lo, 0, v10
	v_cndmask_b32_e64 v10, 0, 1, vcc_lo
	v_add_co_u32 v6, vcc_lo, v6, v10
	v_add_co_ci_u32_e64 v7, null, 0, v7, vcc_lo
	v_mov_b32_e32 v17, v9
	v_mov_b32_e32 v16, v8
	v_mov_b32_e32 v14, v6
	v_mov_b32_e32 v15, v7
	v_mov_b32_e32 v13, v5
	v_mov_b32_e32 v12, v4
	v_mov_b32_e32 v11, v3
	v_mov_b32_e32 v10, v2
.LBB24_93:
	v_mov_b32_e32 v2, v10
	v_mov_b32_e32 v3, v11
	v_mov_b32_e32 v4, v12
	v_mov_b32_e32 v5, v13
	v_mov_b32_e32 v6, v14
	v_mov_b32_e32 v7, v15
	v_mov_b32_e32 v8, v16
	v_mov_b32_e32 v9, v17
.LBB24_94:
	s_or_b32 exec_lo, exec_lo, s0
	v_or_b32_e32 v24, 2, v18
	v_mov_b32_e32 v25, v19
	s_mov_b32 s0, exec_lo
	v_cmpx_gt_i64_e64 s[10:11], v[24:25]
	s_cbranch_execz .LBB24_100
; %bb.95:
	s_andn2_b32 vcc_lo, exec_lo, s1
	s_cbranch_vccnz .LBB24_97
; %bb.96:
	global_load_ushort v10, v[22:23], off offset:4
	s_waitcnt vmcnt(0)
	v_and_b32_e32 v10, 0x7fff, v10
	v_cmp_ne_u16_e32 vcc_lo, 0, v10
	v_cndmask_b32_e64 v10, 0, 1, vcc_lo
	v_add_co_u32 v28, vcc_lo, v6, v10
	v_add_co_ci_u32_e64 v29, null, 0, v7, vcc_lo
	v_mov_b32_e32 v17, v9
	v_mov_b32_e32 v15, v7
	v_mov_b32_e32 v14, v6
	v_mov_b32_e32 v16, v8
	v_mov_b32_e32 v13, v5
	v_mov_b32_e32 v12, v4
	v_mov_b32_e32 v11, v3
	v_mov_b32_e32 v10, v2
	v_mov_b32_e32 v14, v28
	v_mov_b32_e32 v15, v29
	s_cbranch_execz .LBB24_98
	s_branch .LBB24_99
.LBB24_97:
                                        ; implicit-def: $vgpr10_vgpr11_vgpr12_vgpr13_vgpr14_vgpr15_vgpr16_vgpr17
.LBB24_98:
	v_mul_lo_u32 v12, v25, s14
	v_mul_lo_u32 v13, v24, s15
	v_mad_u64_u32 v[10:11], null, v24, s14, 0
	v_add3_u32 v11, v11, v13, v12
	v_lshlrev_b64 v[10:11], 1, v[10:11]
	v_add_co_u32 v10, vcc_lo, v1, v10
	v_add_co_ci_u32_e64 v11, null, v20, v11, vcc_lo
	global_load_ushort v10, v[10:11], off offset:256
	s_waitcnt vmcnt(0)
	v_and_b32_e32 v10, 0x7fff, v10
	v_cmp_ne_u16_e32 vcc_lo, 0, v10
	v_cndmask_b32_e64 v10, 0, 1, vcc_lo
	v_add_co_u32 v6, vcc_lo, v6, v10
	v_add_co_ci_u32_e64 v7, null, 0, v7, vcc_lo
	v_mov_b32_e32 v17, v9
	v_mov_b32_e32 v16, v8
	v_mov_b32_e32 v14, v6
	v_mov_b32_e32 v15, v7
	v_mov_b32_e32 v13, v5
	v_mov_b32_e32 v12, v4
	v_mov_b32_e32 v11, v3
	v_mov_b32_e32 v10, v2
.LBB24_99:
	v_mov_b32_e32 v2, v10
	v_mov_b32_e32 v3, v11
	v_mov_b32_e32 v4, v12
	v_mov_b32_e32 v5, v13
	v_mov_b32_e32 v6, v14
	v_mov_b32_e32 v7, v15
	v_mov_b32_e32 v8, v16
	v_mov_b32_e32 v9, v17
.LBB24_100:
	;; [unrolled: 64-line block ×3, first 2 shown]
	s_or_b32 exec_lo, exec_lo, s0
.LBB24_107:
	s_or_b32 exec_lo, exec_lo, s2
	v_mov_b32_e32 v1, v21
	s_mov_b32 s2, exec_lo
	v_cmpx_gt_i64_e64 s[8:9], v[0:1]
	s_cbranch_execz .LBB24_133
; %bb.108:
	v_mad_u64_u32 v[10:11], null, v0, s14, 0
	v_add_co_u32 v22, vcc_lo, s12, v26
	v_add_co_ci_u32_e64 v23, null, s13, v27, vcc_lo
	v_cndmask_b32_e64 v24, 0, 1, s1
	v_mov_b32_e32 v1, v11
	v_mad_u64_u32 v[0:1], null, v0, s15, v[1:2]
	v_mov_b32_e32 v11, v0
	v_lshlrev_b64 v[0:1], 1, v[10:11]
	v_add_co_u32 v0, s0, v34, v0
	v_add_co_ci_u32_e64 v1, null, v35, v1, s0
	s_mov_b32 s0, exec_lo
	v_cmpx_gt_i64_e64 s[10:11], v[18:19]
	s_cbranch_execz .LBB24_114
; %bb.109:
	s_andn2_b32 vcc_lo, exec_lo, s1
	s_cbranch_vccnz .LBB24_111
; %bb.110:
	global_load_ushort v10, v[0:1], off
	s_waitcnt vmcnt(0)
	v_and_b32_e32 v10, 0x7fff, v10
	v_cmp_ne_u16_e32 vcc_lo, 0, v10
	v_cndmask_b32_e64 v10, 0, 1, vcc_lo
	v_add_co_u32 v20, vcc_lo, v8, v10
	v_add_co_ci_u32_e64 v21, null, 0, v9, vcc_lo
	v_mov_b32_e32 v17, v9
	v_mov_b32_e32 v16, v8
	;; [unrolled: 1-line block ×10, first 2 shown]
	s_cbranch_execz .LBB24_112
	s_branch .LBB24_113
.LBB24_111:
                                        ; implicit-def: $vgpr10_vgpr11_vgpr12_vgpr13_vgpr14_vgpr15_vgpr16_vgpr17
.LBB24_112:
	v_mul_lo_u32 v12, v19, s14
	v_mul_lo_u32 v13, v18, s15
	v_mad_u64_u32 v[10:11], null, v18, s14, 0
	v_add3_u32 v11, v11, v13, v12
	v_lshlrev_b64 v[10:11], 1, v[10:11]
	v_add_co_u32 v10, vcc_lo, v22, v10
	v_add_co_ci_u32_e64 v11, null, v23, v11, vcc_lo
	global_load_ushort v10, v[10:11], off offset:384
	s_waitcnt vmcnt(0)
	v_and_b32_e32 v10, 0x7fff, v10
	v_cmp_ne_u16_e32 vcc_lo, 0, v10
	v_cndmask_b32_e64 v10, 0, 1, vcc_lo
	v_add_co_u32 v8, vcc_lo, v8, v10
	v_add_co_ci_u32_e64 v9, null, 0, v9, vcc_lo
	v_mov_b32_e32 v17, v9
	v_mov_b32_e32 v16, v8
	;; [unrolled: 1-line block ×8, first 2 shown]
.LBB24_113:
	v_mov_b32_e32 v2, v10
	v_mov_b32_e32 v3, v11
	;; [unrolled: 1-line block ×8, first 2 shown]
.LBB24_114:
	s_or_b32 exec_lo, exec_lo, s0
	v_or_b32_e32 v20, 1, v18
	v_mov_b32_e32 v21, v19
	s_mov_b32 s0, exec_lo
	v_cmpx_gt_i64_e64 s[10:11], v[20:21]
	s_cbranch_execz .LBB24_120
; %bb.115:
	v_cmp_ne_u32_e32 vcc_lo, 1, v24
	s_cbranch_vccnz .LBB24_117
; %bb.116:
	global_load_ushort v10, v[0:1], off offset:2
	s_waitcnt vmcnt(0)
	v_and_b32_e32 v10, 0x7fff, v10
	v_cmp_ne_u16_e32 vcc_lo, 0, v10
	v_cndmask_b32_e64 v10, 0, 1, vcc_lo
	v_add_co_u32 v25, vcc_lo, v8, v10
	v_add_co_ci_u32_e64 v26, null, 0, v9, vcc_lo
	v_mov_b32_e32 v17, v9
	v_mov_b32_e32 v16, v8
	;; [unrolled: 1-line block ×10, first 2 shown]
	s_cbranch_execz .LBB24_118
	s_branch .LBB24_119
.LBB24_117:
                                        ; implicit-def: $vgpr10_vgpr11_vgpr12_vgpr13_vgpr14_vgpr15_vgpr16_vgpr17
.LBB24_118:
	v_mul_lo_u32 v12, v21, s14
	v_mul_lo_u32 v13, v20, s15
	v_mad_u64_u32 v[10:11], null, v20, s14, 0
	v_add3_u32 v11, v11, v13, v12
	v_lshlrev_b64 v[10:11], 1, v[10:11]
	v_add_co_u32 v10, vcc_lo, v22, v10
	v_add_co_ci_u32_e64 v11, null, v23, v11, vcc_lo
	global_load_ushort v10, v[10:11], off offset:384
	s_waitcnt vmcnt(0)
	v_and_b32_e32 v10, 0x7fff, v10
	v_cmp_ne_u16_e32 vcc_lo, 0, v10
	v_cndmask_b32_e64 v10, 0, 1, vcc_lo
	v_add_co_u32 v8, vcc_lo, v8, v10
	v_add_co_ci_u32_e64 v9, null, 0, v9, vcc_lo
	v_mov_b32_e32 v17, v9
	v_mov_b32_e32 v16, v8
	v_mov_b32_e32 v15, v7
	v_mov_b32_e32 v14, v6
	v_mov_b32_e32 v13, v5
	v_mov_b32_e32 v12, v4
	v_mov_b32_e32 v11, v3
	v_mov_b32_e32 v10, v2
.LBB24_119:
	v_mov_b32_e32 v2, v10
	v_mov_b32_e32 v3, v11
	;; [unrolled: 1-line block ×8, first 2 shown]
.LBB24_120:
	s_or_b32 exec_lo, exec_lo, s0
	v_or_b32_e32 v20, 2, v18
	v_mov_b32_e32 v21, v19
	s_mov_b32 s0, exec_lo
	v_cmpx_gt_i64_e64 s[10:11], v[20:21]
	s_cbranch_execz .LBB24_126
; %bb.121:
	v_cmp_ne_u32_e32 vcc_lo, 1, v24
	s_cbranch_vccnz .LBB24_123
; %bb.122:
	global_load_ushort v10, v[0:1], off offset:4
	s_waitcnt vmcnt(0)
	v_and_b32_e32 v10, 0x7fff, v10
	v_cmp_ne_u16_e32 vcc_lo, 0, v10
	v_cndmask_b32_e64 v10, 0, 1, vcc_lo
	v_add_co_u32 v25, vcc_lo, v8, v10
	v_add_co_ci_u32_e64 v26, null, 0, v9, vcc_lo
	v_mov_b32_e32 v17, v9
	v_mov_b32_e32 v16, v8
	;; [unrolled: 1-line block ×10, first 2 shown]
	s_cbranch_execz .LBB24_124
	s_branch .LBB24_125
.LBB24_123:
                                        ; implicit-def: $vgpr10_vgpr11_vgpr12_vgpr13_vgpr14_vgpr15_vgpr16_vgpr17
.LBB24_124:
	v_mul_lo_u32 v12, v21, s14
	v_mul_lo_u32 v13, v20, s15
	v_mad_u64_u32 v[10:11], null, v20, s14, 0
	v_add3_u32 v11, v11, v13, v12
	v_lshlrev_b64 v[10:11], 1, v[10:11]
	v_add_co_u32 v10, vcc_lo, v22, v10
	v_add_co_ci_u32_e64 v11, null, v23, v11, vcc_lo
	global_load_ushort v10, v[10:11], off offset:384
	s_waitcnt vmcnt(0)
	v_and_b32_e32 v10, 0x7fff, v10
	v_cmp_ne_u16_e32 vcc_lo, 0, v10
	v_cndmask_b32_e64 v10, 0, 1, vcc_lo
	v_add_co_u32 v8, vcc_lo, v8, v10
	v_add_co_ci_u32_e64 v9, null, 0, v9, vcc_lo
	v_mov_b32_e32 v17, v9
	v_mov_b32_e32 v16, v8
	;; [unrolled: 1-line block ×8, first 2 shown]
.LBB24_125:
	v_mov_b32_e32 v2, v10
	v_mov_b32_e32 v3, v11
	;; [unrolled: 1-line block ×8, first 2 shown]
.LBB24_126:
	s_or_b32 exec_lo, exec_lo, s0
	v_or_b32_e32 v18, 3, v18
	s_mov_b32 s0, exec_lo
	v_cmpx_gt_i64_e64 s[10:11], v[18:19]
	s_cbranch_execz .LBB24_132
; %bb.127:
	v_cmp_ne_u32_e32 vcc_lo, 1, v24
	s_cbranch_vccnz .LBB24_129
; %bb.128:
	global_load_ushort v0, v[0:1], off offset:6
	v_mov_b32_e32 v17, v9
	v_mov_b32_e32 v16, v8
	;; [unrolled: 1-line block ×8, first 2 shown]
	s_waitcnt vmcnt(0)
	v_and_b32_e32 v0, 0x7fff, v0
	v_cmp_ne_u16_e32 vcc_lo, 0, v0
	v_cndmask_b32_e64 v0, 0, 1, vcc_lo
	v_add_co_u32 v0, vcc_lo, v8, v0
	v_add_co_ci_u32_e64 v1, null, 0, v9, vcc_lo
	v_mov_b32_e32 v16, v0
	v_mov_b32_e32 v17, v1
	s_cbranch_execz .LBB24_130
	s_branch .LBB24_131
.LBB24_129:
                                        ; implicit-def: $vgpr10_vgpr11_vgpr12_vgpr13_vgpr14_vgpr15_vgpr16_vgpr17
.LBB24_130:
	v_mul_lo_u32 v10, v19, s14
	v_mul_lo_u32 v11, v18, s15
	v_mad_u64_u32 v[0:1], null, v18, s14, 0
	v_add3_u32 v1, v1, v11, v10
	v_lshlrev_b64 v[0:1], 1, v[0:1]
	v_add_co_u32 v0, vcc_lo, v22, v0
	v_add_co_ci_u32_e64 v1, null, v23, v1, vcc_lo
	global_load_ushort v0, v[0:1], off offset:384
	s_waitcnt vmcnt(0)
	v_and_b32_e32 v0, 0x7fff, v0
	v_cmp_ne_u16_e32 vcc_lo, 0, v0
	v_cndmask_b32_e64 v0, 0, 1, vcc_lo
	v_add_co_u32 v8, vcc_lo, v8, v0
	v_add_co_ci_u32_e64 v9, null, 0, v9, vcc_lo
	v_mov_b32_e32 v17, v9
	v_mov_b32_e32 v16, v8
	;; [unrolled: 1-line block ×8, first 2 shown]
.LBB24_131:
	v_mov_b32_e32 v2, v10
	v_mov_b32_e32 v3, v11
	;; [unrolled: 1-line block ×8, first 2 shown]
.LBB24_132:
	s_or_b32 exec_lo, exec_lo, s0
.LBB24_133:
	s_or_b32 exec_lo, exec_lo, s2
.LBB24_134:
	v_lshlrev_b32_e32 v0, 5, v32
	v_lshlrev_b32_e32 v1, 3, v33
	s_mov_b32 s0, exec_lo
	v_and_or_b32 v0, 0xfffff800, v0, v1
	ds_write2st64_b64 v0, v[2:3], v[4:5] offset1:1
	ds_write2st64_b64 v0, v[6:7], v[8:9] offset0:2 offset1:3
	s_waitcnt lgkmcnt(0)
	s_barrier
	buffer_gl0_inv
	v_cmpx_gt_u32_e32 0x100, v32
	s_cbranch_execz .LBB24_137
; %bb.135:
	v_lshlrev_b32_e32 v12, 3, v32
	ds_read2st64_b64 v[0:3], v12 offset1:4
	ds_read2st64_b64 v[4:7], v12 offset0:8 offset1:12
	ds_read2st64_b64 v[8:11], v12 offset0:16 offset1:20
	s_waitcnt lgkmcnt(2)
	v_add_co_u32 v13, vcc_lo, v0, v2
	v_add_co_ci_u32_e64 v14, null, v1, v3, vcc_lo
	ds_read2st64_b64 v[0:3], v12 offset0:24 offset1:28
	s_waitcnt lgkmcnt(2)
	v_add_co_u32 v4, vcc_lo, v13, v4
	v_add_co_ci_u32_e64 v5, null, v14, v5, vcc_lo
	v_add_co_u32 v13, vcc_lo, v4, v6
	v_add_co_ci_u32_e64 v14, null, v5, v7, vcc_lo
	ds_read2st64_b64 v[4:7], v12 offset0:32 offset1:36
	s_waitcnt lgkmcnt(2)
	v_add_co_u32 v8, vcc_lo, v13, v8
	v_add_co_ci_u32_e64 v9, null, v14, v9, vcc_lo
	;; [unrolled: 6-line block ×5, first 2 shown]
	v_add_co_u32 v8, vcc_lo, v8, v10
	v_add_co_ci_u32_e64 v9, null, v9, v11, vcc_lo
	s_waitcnt lgkmcnt(1)
	v_add_co_u32 v0, vcc_lo, v8, v0
	v_add_co_ci_u32_e64 v1, null, v9, v1, vcc_lo
	v_add_co_u32 v0, vcc_lo, v0, v2
	v_add_co_ci_u32_e64 v1, null, v1, v3, vcc_lo
	v_add_co_u32 v2, s0, v32, s5
	s_waitcnt lgkmcnt(0)
	v_add_co_u32 v0, vcc_lo, v0, v4
	v_add_co_ci_u32_e64 v1, null, v1, v5, vcc_lo
	v_add_co_ci_u32_e64 v3, null, 0, 0, s0
	v_add_co_u32 v0, vcc_lo, v0, v6
	v_add_co_ci_u32_e64 v1, null, v1, v7, vcc_lo
	v_cmp_gt_i64_e32 vcc_lo, s[8:9], v[2:3]
	ds_write_b64 v12, v[0:1]
	s_and_b32 exec_lo, exec_lo, vcc_lo
	s_cbranch_execz .LBB24_137
; %bb.136:
	v_lshlrev_b64 v[2:3], 3, v[2:3]
	v_add_co_u32 v2, vcc_lo, s16, v2
	v_add_co_ci_u32_e64 v3, null, s17, v3, vcc_lo
	global_store_dwordx2 v[2:3], v[0:1], off
.LBB24_137:
	s_endpgm
	.section	.rodata,"a",@progbits
	.p2align	6, 0x0
	.amdhsa_kernel _ZN9rocsparseL14nnz_kernel_rowILi64ELi16Ell18rocsparse_bfloat16EEv16rocsparse_order_T2_S3_PKT3_lPT1_
		.amdhsa_group_segment_fixed_size 32768
		.amdhsa_private_segment_fixed_size 0
		.amdhsa_kernarg_size 304
		.amdhsa_user_sgpr_count 6
		.amdhsa_user_sgpr_private_segment_buffer 1
		.amdhsa_user_sgpr_dispatch_ptr 0
		.amdhsa_user_sgpr_queue_ptr 0
		.amdhsa_user_sgpr_kernarg_segment_ptr 1
		.amdhsa_user_sgpr_dispatch_id 0
		.amdhsa_user_sgpr_flat_scratch_init 0
		.amdhsa_user_sgpr_private_segment_size 0
		.amdhsa_wavefront_size32 1
		.amdhsa_uses_dynamic_stack 0
		.amdhsa_system_sgpr_private_segment_wavefront_offset 0
		.amdhsa_system_sgpr_workgroup_id_x 1
		.amdhsa_system_sgpr_workgroup_id_y 0
		.amdhsa_system_sgpr_workgroup_id_z 0
		.amdhsa_system_sgpr_workgroup_info 0
		.amdhsa_system_vgpr_workitem_id 1
		.amdhsa_next_free_vgpr 44
		.amdhsa_next_free_sgpr 27
		.amdhsa_reserve_vcc 1
		.amdhsa_reserve_flat_scratch 0
		.amdhsa_float_round_mode_32 0
		.amdhsa_float_round_mode_16_64 0
		.amdhsa_float_denorm_mode_32 3
		.amdhsa_float_denorm_mode_16_64 3
		.amdhsa_dx10_clamp 1
		.amdhsa_ieee_mode 1
		.amdhsa_fp16_overflow 0
		.amdhsa_workgroup_processor_mode 1
		.amdhsa_memory_ordered 1
		.amdhsa_forward_progress 1
		.amdhsa_shared_vgpr_count 0
		.amdhsa_exception_fp_ieee_invalid_op 0
		.amdhsa_exception_fp_denorm_src 0
		.amdhsa_exception_fp_ieee_div_zero 0
		.amdhsa_exception_fp_ieee_overflow 0
		.amdhsa_exception_fp_ieee_underflow 0
		.amdhsa_exception_fp_ieee_inexact 0
		.amdhsa_exception_int_div_zero 0
	.end_amdhsa_kernel
	.section	.text._ZN9rocsparseL14nnz_kernel_rowILi64ELi16Ell18rocsparse_bfloat16EEv16rocsparse_order_T2_S3_PKT3_lPT1_,"axG",@progbits,_ZN9rocsparseL14nnz_kernel_rowILi64ELi16Ell18rocsparse_bfloat16EEv16rocsparse_order_T2_S3_PKT3_lPT1_,comdat
.Lfunc_end24:
	.size	_ZN9rocsparseL14nnz_kernel_rowILi64ELi16Ell18rocsparse_bfloat16EEv16rocsparse_order_T2_S3_PKT3_lPT1_, .Lfunc_end24-_ZN9rocsparseL14nnz_kernel_rowILi64ELi16Ell18rocsparse_bfloat16EEv16rocsparse_order_T2_S3_PKT3_lPT1_
                                        ; -- End function
	.set _ZN9rocsparseL14nnz_kernel_rowILi64ELi16Ell18rocsparse_bfloat16EEv16rocsparse_order_T2_S3_PKT3_lPT1_.num_vgpr, 44
	.set _ZN9rocsparseL14nnz_kernel_rowILi64ELi16Ell18rocsparse_bfloat16EEv16rocsparse_order_T2_S3_PKT3_lPT1_.num_agpr, 0
	.set _ZN9rocsparseL14nnz_kernel_rowILi64ELi16Ell18rocsparse_bfloat16EEv16rocsparse_order_T2_S3_PKT3_lPT1_.numbered_sgpr, 27
	.set _ZN9rocsparseL14nnz_kernel_rowILi64ELi16Ell18rocsparse_bfloat16EEv16rocsparse_order_T2_S3_PKT3_lPT1_.num_named_barrier, 0
	.set _ZN9rocsparseL14nnz_kernel_rowILi64ELi16Ell18rocsparse_bfloat16EEv16rocsparse_order_T2_S3_PKT3_lPT1_.private_seg_size, 0
	.set _ZN9rocsparseL14nnz_kernel_rowILi64ELi16Ell18rocsparse_bfloat16EEv16rocsparse_order_T2_S3_PKT3_lPT1_.uses_vcc, 1
	.set _ZN9rocsparseL14nnz_kernel_rowILi64ELi16Ell18rocsparse_bfloat16EEv16rocsparse_order_T2_S3_PKT3_lPT1_.uses_flat_scratch, 0
	.set _ZN9rocsparseL14nnz_kernel_rowILi64ELi16Ell18rocsparse_bfloat16EEv16rocsparse_order_T2_S3_PKT3_lPT1_.has_dyn_sized_stack, 0
	.set _ZN9rocsparseL14nnz_kernel_rowILi64ELi16Ell18rocsparse_bfloat16EEv16rocsparse_order_T2_S3_PKT3_lPT1_.has_recursion, 0
	.set _ZN9rocsparseL14nnz_kernel_rowILi64ELi16Ell18rocsparse_bfloat16EEv16rocsparse_order_T2_S3_PKT3_lPT1_.has_indirect_call, 0
	.section	.AMDGPU.csdata,"",@progbits
; Kernel info:
; codeLenInByte = 8812
; TotalNumSgprs: 29
; NumVgprs: 44
; ScratchSize: 0
; MemoryBound: 0
; FloatMode: 240
; IeeeMode: 1
; LDSByteSize: 32768 bytes/workgroup (compile time only)
; SGPRBlocks: 0
; VGPRBlocks: 5
; NumSGPRsForWavesPerEU: 29
; NumVGPRsForWavesPerEU: 44
; Occupancy: 16
; WaveLimiterHint : 0
; COMPUTE_PGM_RSRC2:SCRATCH_EN: 0
; COMPUTE_PGM_RSRC2:USER_SGPR: 6
; COMPUTE_PGM_RSRC2:TRAP_HANDLER: 0
; COMPUTE_PGM_RSRC2:TGID_X_EN: 1
; COMPUTE_PGM_RSRC2:TGID_Y_EN: 0
; COMPUTE_PGM_RSRC2:TGID_Z_EN: 0
; COMPUTE_PGM_RSRC2:TIDIG_COMP_CNT: 1
	.section	.text._ZN9rocsparseL14nnz_kernel_colILi256Ell18rocsparse_bfloat16EEv16rocsparse_order_T1_S3_PKT2_lPT0_,"axG",@progbits,_ZN9rocsparseL14nnz_kernel_colILi256Ell18rocsparse_bfloat16EEv16rocsparse_order_T1_S3_PKT2_lPT0_,comdat
	.globl	_ZN9rocsparseL14nnz_kernel_colILi256Ell18rocsparse_bfloat16EEv16rocsparse_order_T1_S3_PKT2_lPT0_ ; -- Begin function _ZN9rocsparseL14nnz_kernel_colILi256Ell18rocsparse_bfloat16EEv16rocsparse_order_T1_S3_PKT2_lPT0_
	.p2align	8
	.type	_ZN9rocsparseL14nnz_kernel_colILi256Ell18rocsparse_bfloat16EEv16rocsparse_order_T1_S3_PKT2_lPT0_,@function
_ZN9rocsparseL14nnz_kernel_colILi256Ell18rocsparse_bfloat16EEv16rocsparse_order_T1_S3_PKT2_lPT0_: ; @_ZN9rocsparseL14nnz_kernel_colILi256Ell18rocsparse_bfloat16EEv16rocsparse_order_T1_S3_PKT2_lPT0_
; %bb.0:
	s_clause 0x2
	s_load_dwordx2 s[8:9], s[4:5], 0x8
	s_load_dword s7, s[4:5], 0x0
	s_load_dwordx4 s[0:3], s[4:5], 0x18
	v_mov_b32_e32 v1, 0
	s_waitcnt lgkmcnt(0)
	s_ashr_i32 s10, s9, 31
	v_cmp_gt_i64_e64 s12, 0x100, s[8:9]
	s_lshr_b32 s10, s10, 24
	s_add_u32 s10, s8, s10
	s_addc_u32 s11, s9, 0
	s_and_b32 s10, s10, 0xffffff00
	s_cmp_eq_u32 s7, 1
	s_mov_b32 s7, 0
	s_cbranch_scc1 .LBB25_6
; %bb.1:
	v_mov_b32_e32 v2, 0
	v_mov_b32_e32 v3, 0
	s_and_b32 vcc_lo, exec_lo, s12
	s_cbranch_vccnz .LBB25_7
; %bb.2:
	v_mad_u64_u32 v[2:3], null, s2, v0, 0
	s_lshl_b64 s[12:13], s[6:7], 1
	s_mov_b64 s[14:15], 0
	s_add_u32 s12, s0, s12
	s_addc_u32 s13, s1, s13
	v_mad_u64_u32 v[3:4], null, s3, v0, v[3:4]
	v_lshlrev_b64 v[4:5], 1, v[2:3]
	v_mov_b32_e32 v2, 0
	v_mov_b32_e32 v3, 0
	v_add_co_u32 v4, vcc_lo, s12, v4
	v_add_co_ci_u32_e64 v5, null, s13, v5, vcc_lo
	s_lshl_b64 s[12:13], s[2:3], 9
	s_inst_prefetch 0x1
	s_branch .LBB25_4
	.p2align	6
.LBB25_3:                               ;   in Loop: Header=BB25_4 Depth=1
	s_or_b32 exec_lo, exec_lo, s16
	s_add_u32 s14, s14, 0x100
	s_addc_u32 s15, s15, 0
	v_add_co_u32 v4, vcc_lo, v4, s12
	v_cmp_ge_i64_e64 s16, s[14:15], s[10:11]
	v_add_co_ci_u32_e64 v5, null, s13, v5, vcc_lo
	s_and_b32 vcc_lo, exec_lo, s16
	s_cbranch_vccnz .LBB25_7
.LBB25_4:                               ; =>This Inner Loop Header: Depth=1
	v_add_co_u32 v6, s16, v0, s14
	v_add_co_ci_u32_e64 v7, null, 0, s15, s16
	s_mov_b32 s16, exec_lo
	v_cmpx_gt_i64_e64 s[8:9], v[6:7]
	s_cbranch_execz .LBB25_3
; %bb.5:                                ;   in Loop: Header=BB25_4 Depth=1
	global_load_ushort v6, v[4:5], off
	s_waitcnt vmcnt(0)
	v_and_b32_e32 v6, 0x7fff, v6
	v_cmp_ne_u16_e32 vcc_lo, 0, v6
	v_cndmask_b32_e64 v6, 0, 1, vcc_lo
	v_add_co_u32 v2, vcc_lo, v2, v6
	v_add_co_ci_u32_e64 v3, null, 0, v3, vcc_lo
	s_branch .LBB25_3
.LBB25_6:
                                        ; implicit-def: $vgpr2_vgpr3
	s_load_dwordx2 s[4:5], s[4:5], 0x28
	s_cbranch_execnz .LBB25_10
	s_branch .LBB25_16
.LBB25_7:
	s_inst_prefetch 0x2
	v_add_co_u32 v4, s12, s10, v0
	v_add_co_ci_u32_e64 v5, null, s11, 0, s12
	s_mov_b32 s12, exec_lo
	v_cmpx_gt_i64_e64 s[8:9], v[4:5]
	s_cbranch_execz .LBB25_9
; %bb.8:
	v_mul_lo_u32 v6, v5, s2
	v_mul_lo_u32 v7, v4, s3
	v_mad_u64_u32 v[4:5], null, v4, s2, 0
	s_lshl_b64 s[14:15], s[6:7], 1
	v_add3_u32 v5, v5, v7, v6
	v_lshlrev_b64 v[4:5], 1, v[4:5]
	v_add_co_u32 v4, vcc_lo, s0, v4
	v_add_co_ci_u32_e64 v5, null, s1, v5, vcc_lo
	v_add_co_u32 v4, vcc_lo, v4, s14
	v_add_co_ci_u32_e64 v5, null, s15, v5, vcc_lo
	global_load_ushort v4, v[4:5], off
	s_waitcnt vmcnt(0)
	v_and_b32_e32 v4, 0x7fff, v4
	v_cmp_ne_u16_e32 vcc_lo, 0, v4
	v_cndmask_b32_e64 v4, 0, 1, vcc_lo
	v_add_co_u32 v2, vcc_lo, v2, v4
	v_add_co_ci_u32_e64 v3, null, 0, v3, vcc_lo
.LBB25_9:
	s_or_b32 exec_lo, exec_lo, s12
	s_load_dwordx2 s[4:5], s[4:5], 0x28
	s_branch .LBB25_16
.LBB25_10:
	v_cmp_gt_i64_e32 vcc_lo, s[8:9], v[0:1]
	s_mul_i32 s3, s3, s6
	s_mul_hi_u32 s12, s2, s6
	s_mul_i32 s2, s2, s6
	s_add_i32 s3, s12, s3
	v_mov_b32_e32 v2, 0
	v_cndmask_b32_e32 v1, 0, v0, vcc_lo
	s_lshl_b64 s[2:3], s[2:3], 1
	v_mov_b32_e32 v3, 0
	s_add_u32 s0, s0, s2
	v_cmp_gt_i64_e64 s2, 0x100, s[8:9]
	v_lshlrev_b32_e32 v1, 1, v1
	s_addc_u32 s1, s1, s3
	s_and_b32 vcc_lo, exec_lo, s2
	v_add_co_u32 v4, s0, s0, v1
	v_add_co_ci_u32_e64 v5, null, s1, 0, s0
	s_cbranch_vccnz .LBB25_13
; %bb.11:
	v_mov_b32_e32 v2, 0
	v_mov_b32_e32 v7, v5
	;; [unrolled: 1-line block ×4, first 2 shown]
	s_mov_b64 s[2:3], 0
	.p2align	6
.LBB25_12:                              ; =>This Inner Loop Header: Depth=1
	global_load_ushort v1, v[6:7], off
	v_add_co_u32 v6, vcc_lo, 0x200, v6
	v_add_co_ci_u32_e64 v7, null, 0, v7, vcc_lo
	s_add_u32 s2, s2, 0x100
	s_addc_u32 s3, s3, 0
	v_cmp_ge_i64_e64 s0, s[2:3], s[10:11]
	s_waitcnt vmcnt(0)
	v_and_b32_e32 v1, 0x7fff, v1
	v_cmp_ne_u16_e32 vcc_lo, 0, v1
	v_cndmask_b32_e64 v1, 0, 1, vcc_lo
	s_and_b32 vcc_lo, exec_lo, s0
	v_add_co_u32 v2, s0, v2, v1
	v_add_co_ci_u32_e64 v3, null, 0, v3, s0
	s_cbranch_vccz .LBB25_12
.LBB25_13:
	v_add_co_u32 v6, s0, s10, v0
	v_add_co_ci_u32_e64 v7, null, s11, 0, s0
	s_mov_b32 s0, exec_lo
	v_cmpx_gt_i64_e64 s[8:9], v[6:7]
	s_cbranch_execz .LBB25_15
; %bb.14:
	s_lshl_b64 s[2:3], s[10:11], 1
	v_add_co_u32 v4, vcc_lo, v4, s2
	v_add_co_ci_u32_e64 v5, null, s3, v5, vcc_lo
	global_load_ushort v1, v[4:5], off
	s_waitcnt vmcnt(0)
	v_and_b32_e32 v1, 0x7fff, v1
	v_cmp_ne_u16_e32 vcc_lo, 0, v1
	v_cndmask_b32_e64 v1, 0, 1, vcc_lo
	v_add_co_u32 v2, vcc_lo, v2, v1
	v_add_co_ci_u32_e64 v3, null, 0, v3, vcc_lo
.LBB25_15:
	s_or_b32 exec_lo, exec_lo, s0
.LBB25_16:
	v_cmp_gt_i64_e64 s0, 0x100, s[8:9]
	v_lshlrev_b32_e32 v4, 3, v0
	s_mov_b32 s1, -1
	ds_write_b64 v4, v[2:3]
	s_and_b32 vcc_lo, exec_lo, s0
	v_cmp_eq_u32_e64 s0, 0, v0
	s_waitcnt lgkmcnt(0)
	s_cbranch_vccz .LBB25_26
; %bb.17:
	v_cmp_gt_i64_e64 s1, s[8:9], 1
	s_mov_b64 s[2:3], 1
	s_barrier
	buffer_gl0_inv
	s_and_b32 s0, s0, s1
	s_and_saveexec_b32 s3, s0
	s_cbranch_execz .LBB25_25
; %bb.18:
	v_mov_b32_e32 v1, 0
	s_add_u32 s10, s8, -1
	s_addc_u32 s1, s9, -1
	s_add_u32 s8, s8, -2
	s_addc_u32 s9, s9, -1
	ds_read_b64 v[1:2], v1
	v_cmp_lt_u64_e64 s0, s[8:9], 7
	s_and_b32 vcc_lo, exec_lo, s0
	s_cbranch_vccnz .LBB25_21
; %bb.19:
	s_and_b32 s0, s10, -8
	s_mov_b64 s[8:9], 0
	s_mov_b32 s11, 8
	s_inst_prefetch 0x1
	.p2align	6
.LBB25_20:                              ; =>This Inner Loop Header: Depth=1
	v_mov_b32_e32 v3, s11
	s_add_u32 s12, s8, 8
	s_addc_u32 s13, s9, 0
	s_add_i32 s11, s11, 64
	s_add_u32 s2, s8, 9
	ds_read2_b64 v[5:8], v3 offset1:1
	ds_read2_b64 v[9:12], v3 offset0:2 offset1:3
	ds_read2_b64 v[13:16], v3 offset0:4 offset1:5
	s_cmp_lg_u64 s[0:1], s[12:13]
	s_mov_b64 s[8:9], s[12:13]
	s_waitcnt lgkmcnt(2)
	v_add_co_u32 v1, vcc_lo, v1, v5
	v_add_co_ci_u32_e64 v2, null, v2, v6, vcc_lo
	v_add_co_u32 v1, vcc_lo, v1, v7
	v_add_co_ci_u32_e64 v2, null, v2, v8, vcc_lo
	ds_read2_b64 v[5:8], v3 offset0:6 offset1:7
	s_waitcnt lgkmcnt(2)
	v_add_co_u32 v1, vcc_lo, v1, v9
	v_add_co_ci_u32_e64 v2, null, v2, v10, vcc_lo
	v_add_co_u32 v1, vcc_lo, v1, v11
	v_add_co_ci_u32_e64 v2, null, v2, v12, vcc_lo
	s_waitcnt lgkmcnt(1)
	v_add_co_u32 v1, vcc_lo, v1, v13
	v_add_co_ci_u32_e64 v2, null, v2, v14, vcc_lo
	v_add_co_u32 v1, vcc_lo, v1, v15
	v_add_co_ci_u32_e64 v2, null, v2, v16, vcc_lo
	;; [unrolled: 5-line block ×3, first 2 shown]
	s_cbranch_scc1 .LBB25_20
.LBB25_21:
	s_inst_prefetch 0x2
	s_and_b32 s0, s10, 7
	s_mov_b32 s1, 0
	s_cmp_eq_u64 s[0:1], 0
	s_cbranch_scc1 .LBB25_24
; %bb.22:
	s_lshl_b32 s2, s2, 3
.LBB25_23:                              ; =>This Inner Loop Header: Depth=1
	v_mov_b32_e32 v3, s2
	s_add_i32 s2, s2, 8
	s_add_u32 s0, s0, -1
	s_addc_u32 s1, s1, -1
	s_cmp_lg_u64 s[0:1], 0
	ds_read_b64 v[5:6], v3
	s_waitcnt lgkmcnt(0)
	v_add_co_u32 v1, vcc_lo, v1, v5
	v_add_co_ci_u32_e64 v2, null, v2, v6, vcc_lo
	s_cbranch_scc1 .LBB25_23
.LBB25_24:
	v_mov_b32_e32 v3, 0
	s_waitcnt lgkmcnt(0)
	ds_write_b64 v3, v[1:2]
.LBB25_25:
	s_or_b32 exec_lo, exec_lo, s3
	s_mov_b32 s1, 0
	s_waitcnt lgkmcnt(0)
	s_barrier
.LBB25_26:
	s_and_b32 vcc_lo, exec_lo, s1
	s_cbranch_vccz .LBB25_44
; %bb.27:
	s_mov_b32 s0, exec_lo
	s_barrier
	buffer_gl0_inv
	v_cmpx_gt_u32_e32 0x80, v0
	s_cbranch_execz .LBB25_29
; %bb.28:
	ds_read2st64_b64 v[5:8], v4 offset1:2
	s_waitcnt lgkmcnt(0)
	v_add_co_u32 v1, vcc_lo, v5, v7
	v_add_co_ci_u32_e64 v2, null, v6, v8, vcc_lo
	ds_write_b64 v4, v[1:2]
.LBB25_29:
	s_or_b32 exec_lo, exec_lo, s0
	s_mov_b32 s0, exec_lo
	s_waitcnt lgkmcnt(0)
	s_barrier
	buffer_gl0_inv
	v_cmpx_gt_u32_e32 64, v0
	s_cbranch_execz .LBB25_31
; %bb.30:
	ds_read2st64_b64 v[5:8], v4 offset1:1
	s_waitcnt lgkmcnt(0)
	v_add_co_u32 v1, vcc_lo, v5, v7
	v_add_co_ci_u32_e64 v2, null, v6, v8, vcc_lo
	ds_write_b64 v4, v[1:2]
.LBB25_31:
	s_or_b32 exec_lo, exec_lo, s0
	s_mov_b32 s0, exec_lo
	s_waitcnt lgkmcnt(0)
	s_barrier
	buffer_gl0_inv
	v_cmpx_gt_u32_e32 32, v0
	s_cbranch_execz .LBB25_33
; %bb.32:
	ds_read2_b64 v[5:8], v4 offset1:32
	s_waitcnt lgkmcnt(0)
	v_add_co_u32 v1, vcc_lo, v5, v7
	v_add_co_ci_u32_e64 v2, null, v6, v8, vcc_lo
	ds_write_b64 v4, v[1:2]
.LBB25_33:
	s_or_b32 exec_lo, exec_lo, s0
	s_mov_b32 s0, exec_lo
	s_waitcnt lgkmcnt(0)
	s_barrier
	buffer_gl0_inv
	v_cmpx_gt_u32_e32 16, v0
	s_cbranch_execz .LBB25_35
; %bb.34:
	ds_read2_b64 v[5:8], v4 offset1:16
	s_waitcnt lgkmcnt(0)
	v_add_co_u32 v1, vcc_lo, v5, v7
	v_add_co_ci_u32_e64 v2, null, v6, v8, vcc_lo
	ds_write_b64 v4, v[1:2]
.LBB25_35:
	;; [unrolled: 14-line block ×5, first 2 shown]
	s_or_b32 exec_lo, exec_lo, s0
	s_mov_b32 s0, exec_lo
	s_waitcnt lgkmcnt(0)
	s_barrier
	buffer_gl0_inv
	v_cmpx_eq_u32_e32 0, v0
	s_cbranch_execz .LBB25_43
; %bb.42:
	v_mov_b32_e32 v5, 0
	ds_read_b128 v[1:4], v5
	s_waitcnt lgkmcnt(0)
	v_add_co_u32 v1, vcc_lo, v1, v3
	v_add_co_ci_u32_e64 v2, null, v2, v4, vcc_lo
	ds_write_b64 v5, v[1:2]
.LBB25_43:
	s_or_b32 exec_lo, exec_lo, s0
	s_waitcnt lgkmcnt(0)
	s_barrier
.LBB25_44:
	buffer_gl0_inv
	s_mov_b32 s0, exec_lo
	v_cmpx_eq_u32_e32 0, v0
	s_cbranch_execz .LBB25_46
; %bb.45:
	v_mov_b32_e32 v2, 0
	s_lshl_b64 s[0:1], s[6:7], 3
	s_add_u32 s0, s4, s0
	s_addc_u32 s1, s5, s1
	ds_read_b64 v[0:1], v2
	s_waitcnt lgkmcnt(0)
	global_store_dwordx2 v2, v[0:1], s[0:1]
.LBB25_46:
	s_endpgm
	.section	.rodata,"a",@progbits
	.p2align	6, 0x0
	.amdhsa_kernel _ZN9rocsparseL14nnz_kernel_colILi256Ell18rocsparse_bfloat16EEv16rocsparse_order_T1_S3_PKT2_lPT0_
		.amdhsa_group_segment_fixed_size 2048
		.amdhsa_private_segment_fixed_size 0
		.amdhsa_kernarg_size 48
		.amdhsa_user_sgpr_count 6
		.amdhsa_user_sgpr_private_segment_buffer 1
		.amdhsa_user_sgpr_dispatch_ptr 0
		.amdhsa_user_sgpr_queue_ptr 0
		.amdhsa_user_sgpr_kernarg_segment_ptr 1
		.amdhsa_user_sgpr_dispatch_id 0
		.amdhsa_user_sgpr_flat_scratch_init 0
		.amdhsa_user_sgpr_private_segment_size 0
		.amdhsa_wavefront_size32 1
		.amdhsa_uses_dynamic_stack 0
		.amdhsa_system_sgpr_private_segment_wavefront_offset 0
		.amdhsa_system_sgpr_workgroup_id_x 1
		.amdhsa_system_sgpr_workgroup_id_y 0
		.amdhsa_system_sgpr_workgroup_id_z 0
		.amdhsa_system_sgpr_workgroup_info 0
		.amdhsa_system_vgpr_workitem_id 0
		.amdhsa_next_free_vgpr 17
		.amdhsa_next_free_sgpr 17
		.amdhsa_reserve_vcc 1
		.amdhsa_reserve_flat_scratch 0
		.amdhsa_float_round_mode_32 0
		.amdhsa_float_round_mode_16_64 0
		.amdhsa_float_denorm_mode_32 3
		.amdhsa_float_denorm_mode_16_64 3
		.amdhsa_dx10_clamp 1
		.amdhsa_ieee_mode 1
		.amdhsa_fp16_overflow 0
		.amdhsa_workgroup_processor_mode 1
		.amdhsa_memory_ordered 1
		.amdhsa_forward_progress 1
		.amdhsa_shared_vgpr_count 0
		.amdhsa_exception_fp_ieee_invalid_op 0
		.amdhsa_exception_fp_denorm_src 0
		.amdhsa_exception_fp_ieee_div_zero 0
		.amdhsa_exception_fp_ieee_overflow 0
		.amdhsa_exception_fp_ieee_underflow 0
		.amdhsa_exception_fp_ieee_inexact 0
		.amdhsa_exception_int_div_zero 0
	.end_amdhsa_kernel
	.section	.text._ZN9rocsparseL14nnz_kernel_colILi256Ell18rocsparse_bfloat16EEv16rocsparse_order_T1_S3_PKT2_lPT0_,"axG",@progbits,_ZN9rocsparseL14nnz_kernel_colILi256Ell18rocsparse_bfloat16EEv16rocsparse_order_T1_S3_PKT2_lPT0_,comdat
.Lfunc_end25:
	.size	_ZN9rocsparseL14nnz_kernel_colILi256Ell18rocsparse_bfloat16EEv16rocsparse_order_T1_S3_PKT2_lPT0_, .Lfunc_end25-_ZN9rocsparseL14nnz_kernel_colILi256Ell18rocsparse_bfloat16EEv16rocsparse_order_T1_S3_PKT2_lPT0_
                                        ; -- End function
	.set _ZN9rocsparseL14nnz_kernel_colILi256Ell18rocsparse_bfloat16EEv16rocsparse_order_T1_S3_PKT2_lPT0_.num_vgpr, 17
	.set _ZN9rocsparseL14nnz_kernel_colILi256Ell18rocsparse_bfloat16EEv16rocsparse_order_T1_S3_PKT2_lPT0_.num_agpr, 0
	.set _ZN9rocsparseL14nnz_kernel_colILi256Ell18rocsparse_bfloat16EEv16rocsparse_order_T1_S3_PKT2_lPT0_.numbered_sgpr, 17
	.set _ZN9rocsparseL14nnz_kernel_colILi256Ell18rocsparse_bfloat16EEv16rocsparse_order_T1_S3_PKT2_lPT0_.num_named_barrier, 0
	.set _ZN9rocsparseL14nnz_kernel_colILi256Ell18rocsparse_bfloat16EEv16rocsparse_order_T1_S3_PKT2_lPT0_.private_seg_size, 0
	.set _ZN9rocsparseL14nnz_kernel_colILi256Ell18rocsparse_bfloat16EEv16rocsparse_order_T1_S3_PKT2_lPT0_.uses_vcc, 1
	.set _ZN9rocsparseL14nnz_kernel_colILi256Ell18rocsparse_bfloat16EEv16rocsparse_order_T1_S3_PKT2_lPT0_.uses_flat_scratch, 0
	.set _ZN9rocsparseL14nnz_kernel_colILi256Ell18rocsparse_bfloat16EEv16rocsparse_order_T1_S3_PKT2_lPT0_.has_dyn_sized_stack, 0
	.set _ZN9rocsparseL14nnz_kernel_colILi256Ell18rocsparse_bfloat16EEv16rocsparse_order_T1_S3_PKT2_lPT0_.has_recursion, 0
	.set _ZN9rocsparseL14nnz_kernel_colILi256Ell18rocsparse_bfloat16EEv16rocsparse_order_T1_S3_PKT2_lPT0_.has_indirect_call, 0
	.section	.AMDGPU.csdata,"",@progbits
; Kernel info:
; codeLenInByte = 1964
; TotalNumSgprs: 19
; NumVgprs: 17
; ScratchSize: 0
; MemoryBound: 0
; FloatMode: 240
; IeeeMode: 1
; LDSByteSize: 2048 bytes/workgroup (compile time only)
; SGPRBlocks: 0
; VGPRBlocks: 2
; NumSGPRsForWavesPerEU: 19
; NumVGPRsForWavesPerEU: 17
; Occupancy: 16
; WaveLimiterHint : 0
; COMPUTE_PGM_RSRC2:SCRATCH_EN: 0
; COMPUTE_PGM_RSRC2:USER_SGPR: 6
; COMPUTE_PGM_RSRC2:TRAP_HANDLER: 0
; COMPUTE_PGM_RSRC2:TGID_X_EN: 1
; COMPUTE_PGM_RSRC2:TGID_Y_EN: 0
; COMPUTE_PGM_RSRC2:TGID_Z_EN: 0
; COMPUTE_PGM_RSRC2:TIDIG_COMP_CNT: 0
	.section	.text._ZN9rocsparseL14nnz_kernel_rowILi64ELi16EllDF16_EEv16rocsparse_order_T2_S2_PKT3_lPT1_,"axG",@progbits,_ZN9rocsparseL14nnz_kernel_rowILi64ELi16EllDF16_EEv16rocsparse_order_T2_S2_PKT3_lPT1_,comdat
	.globl	_ZN9rocsparseL14nnz_kernel_rowILi64ELi16EllDF16_EEv16rocsparse_order_T2_S2_PKT3_lPT1_ ; -- Begin function _ZN9rocsparseL14nnz_kernel_rowILi64ELi16EllDF16_EEv16rocsparse_order_T2_S2_PKT3_lPT1_
	.p2align	8
	.type	_ZN9rocsparseL14nnz_kernel_rowILi64ELi16EllDF16_EEv16rocsparse_order_T2_S2_PKT3_lPT1_,@function
_ZN9rocsparseL14nnz_kernel_rowILi64ELi16EllDF16_EEv16rocsparse_order_T2_S2_PKT3_lPT1_: ; @_ZN9rocsparseL14nnz_kernel_rowILi64ELi16EllDF16_EEv16rocsparse_order_T2_S2_PKT3_lPT1_
; %bb.0:
	s_clause 0x3
	s_load_dword s0, s[4:5], 0x3c
	s_load_dwordx8 s[8:15], s[4:5], 0x8
	s_load_dwordx2 s[16:17], s[4:5], 0x28
	s_load_dword s22, s[4:5], 0x0
	s_lshl_b32 s5, s6, 8
	v_mov_b32_e32 v21, 0
	s_mov_b32 s24, 0
	s_mov_b32 s23, exec_lo
	v_mov_b32_e32 v19, v21
	v_mov_b32_e32 v2, v21
	;; [unrolled: 1-line block ×9, first 2 shown]
	s_waitcnt lgkmcnt(0)
	s_and_b32 s0, s0, 0xffff
	v_mad_u32_u24 v32, v1, s0, v0
	s_ashr_i32 s0, s11, 31
	s_lshr_b32 s0, s0, 26
	s_add_u32 s0, s10, s0
	v_and_b32_e32 v33, 63, v32
	v_lshrrev_b32_e32 v0, 4, v32
	s_addc_u32 s19, s11, 0
	s_and_b32 s18, s0, 0xffffffc0
	v_or_b32_e32 v20, s5, v33
	v_and_b32_e32 v18, 0x7ffffc, v0
	s_sub_u32 s6, s10, s18
	s_subb_u32 s7, s11, s19
	v_or_b32_e32 v24, 64, v20
	v_or_b32_e32 v22, 0x80, v20
	;; [unrolled: 1-line block ×3, first 2 shown]
	v_cmpx_gt_i64_e64 s[18:19], v[18:19]
	s_cbranch_execz .LBB26_28
; %bb.1:
	v_add_co_u32 v2, s0, s5, v33
	v_add_co_ci_u32_e64 v3, null, 0, 0, s0
	v_mov_b32_e32 v1, v21
	v_mul_lo_u32 v6, s15, v2
	v_mad_u64_u32 v[4:5], null, s14, v2, 0
	v_mul_lo_u32 v7, s14, v3
	v_add_co_u32 v8, vcc_lo, v2, 64
	v_add_co_ci_u32_e64 v9, null, 0, v3, vcc_lo
	v_lshrrev_b32_e32 v14, 6, v32
	v_cmp_gt_i64_e64 s3, s[8:9], v[0:1]
	v_mul_lo_u32 v1, s15, v8
	v_add3_u32 v5, v5, v7, v6
	v_mul_lo_u32 v9, s14, v9
	v_mad_u64_u32 v[6:7], null, s14, v8, 0
	v_add_co_u32 v8, vcc_lo, 0x80, v2
	v_lshlrev_b64 v[4:5], 1, v[4:5]
	v_mov_b32_e32 v23, v21
	v_lshlrev_b32_e32 v16, 3, v14
	v_add_co_ci_u32_e64 v10, null, 0, v3, vcc_lo
	v_add3_u32 v7, v7, v9, v1
	v_cmp_gt_i64_e64 s2, s[8:9], v[22:23]
	v_add_co_u32 v23, vcc_lo, v4, v16
	v_mul_lo_u32 v1, s15, v8
	v_mul_lo_u32 v10, s14, v10
	v_mad_u64_u32 v[8:9], null, s14, v8, 0
	v_add_co_ci_u32_e64 v29, null, 0, v5, vcc_lo
	v_add_co_u32 v11, vcc_lo, 0xc0, v2
	v_mov_b32_e32 v25, v21
	v_add_co_ci_u32_e64 v12, null, 0, v3, vcc_lo
	v_add3_u32 v9, v9, v10, v1
	v_mul_lo_u32 v15, s15, v11
	v_cmp_gt_i64_e64 s1, s[8:9], v[24:25]
	v_mul_lo_u32 v25, s14, v12
	v_mad_u64_u32 v[10:11], null, s14, v11, 0
	v_lshlrev_b64 v[4:5], 1, v[6:7]
	v_mad_u64_u32 v[12:13], null, s14, v14, 0
	v_lshlrev_b64 v[6:7], 1, v[2:3]
	v_or_b32_e32 v17, 6, v16
	v_or_b32_e32 v36, 2, v16
	v_add_co_u32 v30, vcc_lo, v4, v16
	v_lshlrev_b64 v[3:4], 1, v[8:9]
	v_add3_u32 v11, v11, v25, v15
	v_or_b32_e32 v15, 4, v16
	v_add_co_ci_u32_e64 v31, null, 0, v5, vcc_lo
	v_mov_b32_e32 v5, v13
	v_mad_u64_u32 v[1:2], null, s14, v17, v[6:7]
	v_mad_u64_u32 v[25:26], null, s14, v15, v[6:7]
	;; [unrolled: 1-line block ×4, first 2 shown]
	v_add_co_u32 v34, vcc_lo, v3, v16
	v_add_co_ci_u32_e64 v35, null, 0, v4, vcc_lo
	v_lshlrev_b64 v[3:4], 1, v[10:11]
	v_mov_b32_e32 v5, v26
	v_mov_b32_e32 v13, v8
	v_cmp_gt_i64_e64 s0, s[8:9], v[20:21]
	v_mov_b32_e32 v8, v21
	s_cmp_lg_u32 s22, 1
	v_mad_u64_u32 v[9:10], null, s15, v17, v[2:3]
	v_mov_b32_e32 v2, v28
	v_mad_u64_u32 v[10:11], null, s15, v15, v[5:6]
	v_lshlrev_b64 v[11:12], 3, v[12:13]
	v_add_co_u32 v26, vcc_lo, v3, v16
	v_mad_u64_u32 v[14:15], null, s15, v36, v[2:3]
	v_add_co_ci_u32_e64 v28, null, 0, v4, vcc_lo
	v_add_co_u32 v39, vcc_lo, v11, v6
	v_mov_b32_e32 v36, v9
	v_mov_b32_e32 v37, v10
	;; [unrolled: 1-line block ×3, first 2 shown]
	v_add_co_ci_u32_e64 v40, null, v12, v7, vcc_lo
	v_mov_b32_e32 v2, v21
	v_mov_b32_e32 v3, v21
	;; [unrolled: 1-line block ×7, first 2 shown]
	s_cselect_b32 s25, -1, 0
	s_lshl_b64 s[20:21], s[14:15], 7
	s_branch .LBB26_4
.LBB26_2:                               ;   in Loop: Header=BB26_4 Depth=1
	v_mov_b32_e32 v2, v10
	v_mov_b32_e32 v3, v11
	;; [unrolled: 1-line block ×8, first 2 shown]
.LBB26_3:                               ;   in Loop: Header=BB26_4 Depth=1
	s_or_b32 exec_lo, exec_lo, s4
	v_add_co_u32 v18, vcc_lo, v18, 64
	v_add_co_ci_u32_e64 v19, null, 0, v19, vcc_lo
	v_add_co_u32 v23, vcc_lo, 0x80, v23
	v_add_co_ci_u32_e64 v29, null, 0, v29, vcc_lo
	;; [unrolled: 2-line block ×8, first 2 shown]
	v_cmp_le_i64_e32 vcc_lo, s[18:19], v[18:19]
	v_add_co_u32 v39, s4, v39, s20
	v_add_co_ci_u32_e64 v40, null, s21, v40, s4
	s_or_b32 s24, vcc_lo, s24
	s_andn2_b32 exec_lo, exec_lo, s24
	s_cbranch_execz .LBB26_27
.LBB26_4:                               ; =>This Inner Loop Header: Depth=1
	s_and_saveexec_b32 s4, s0
	s_cbranch_execnz .LBB26_8
; %bb.5:                                ;   in Loop: Header=BB26_4 Depth=1
	s_or_b32 exec_lo, exec_lo, s4
	s_and_saveexec_b32 s4, s1
	s_cbranch_execnz .LBB26_13
.LBB26_6:                               ;   in Loop: Header=BB26_4 Depth=1
	s_or_b32 exec_lo, exec_lo, s4
	s_and_saveexec_b32 s4, s2
	s_cbranch_execnz .LBB26_18
.LBB26_7:                               ;   in Loop: Header=BB26_4 Depth=1
	s_or_b32 exec_lo, exec_lo, s4
	s_and_saveexec_b32 s4, s3
	s_cbranch_execz .LBB26_3
	s_branch .LBB26_23
.LBB26_8:                               ;   in Loop: Header=BB26_4 Depth=1
	s_andn2_b32 vcc_lo, exec_lo, s25
	s_mov_b32 s26, -1
                                        ; implicit-def: $vgpr10_vgpr11_vgpr12_vgpr13_vgpr14_vgpr15_vgpr16_vgpr17
	s_cbranch_vccnz .LBB26_10
; %bb.9:                                ;   in Loop: Header=BB26_4 Depth=1
	v_add_co_u32 v10, vcc_lo, s12, v23
	v_add_co_ci_u32_e64 v11, null, s13, v29, vcc_lo
	v_add_co_u32 v12, vcc_lo, v2, 1
	v_add_co_ci_u32_e64 v13, null, 0, v3, vcc_lo
	global_load_dwordx2 v[10:11], v[10:11], off
	v_mov_b32_e32 v16, v8
	s_mov_b32 s26, 0
	s_waitcnt vmcnt(0)
	v_cmp_neq_f16_e32 vcc_lo, 0, v10
	v_cndmask_b32_e32 v12, v2, v12, vcc_lo
	v_cndmask_b32_e32 v13, v3, v13, vcc_lo
	v_add_co_u32 v14, vcc_lo, v12, 1
	v_add_co_ci_u32_e64 v15, null, 0, v13, vcc_lo
	v_cmp_neq_f16_sdwa vcc_lo, v10, v21 src0_sel:WORD_1 src1_sel:DWORD
	v_cndmask_b32_e32 v12, v12, v14, vcc_lo
	v_cndmask_b32_e32 v10, v13, v15, vcc_lo
	v_mov_b32_e32 v15, v7
	v_add_co_u32 v13, vcc_lo, v12, 1
	v_add_co_ci_u32_e64 v14, null, 0, v10, vcc_lo
	v_cmp_neq_f16_e32 vcc_lo, 0, v11
	v_cndmask_b32_e32 v17, v12, v13, vcc_lo
	v_cndmask_b32_e32 v10, v10, v14, vcc_lo
	v_mov_b32_e32 v12, v4
	v_mov_b32_e32 v13, v5
	;; [unrolled: 1-line block ×3, first 2 shown]
	v_add_co_u32 v41, vcc_lo, v17, 1
	v_add_co_ci_u32_e64 v42, null, 0, v10, vcc_lo
	v_cmp_neq_f16_sdwa vcc_lo, v11, v21 src0_sel:WORD_1 src1_sel:DWORD
	v_cndmask_b32_e32 v11, v10, v42, vcc_lo
	v_cndmask_b32_e32 v10, v17, v41, vcc_lo
	v_mov_b32_e32 v17, v9
.LBB26_10:                              ;   in Loop: Header=BB26_4 Depth=1
	s_andn2_b32 vcc_lo, exec_lo, s26
	s_cbranch_vccnz .LBB26_12
; %bb.11:                               ;   in Loop: Header=BB26_4 Depth=1
	v_add_co_u32 v10, vcc_lo, s12, v39
	v_add_co_ci_u32_e64 v11, null, s13, v40, vcc_lo
	global_load_ushort v12, v[10:11], off
	v_add_co_u32 v10, vcc_lo, s12, v27
	v_add_co_ci_u32_e64 v11, null, s13, v38, vcc_lo
	global_load_ushort v13, v[10:11], off
	;; [unrolled: 3-line block ×4, first 2 shown]
	v_add_co_u32 v11, vcc_lo, v2, 1
	v_add_co_ci_u32_e64 v15, null, 0, v3, vcc_lo
	s_waitcnt vmcnt(3)
	v_cmp_neq_f16_e32 vcc_lo, 0, v12
	v_cndmask_b32_e32 v2, v2, v11, vcc_lo
	v_cndmask_b32_e32 v3, v3, v15, vcc_lo
	v_add_co_u32 v11, vcc_lo, v2, 1
	v_add_co_ci_u32_e64 v12, null, 0, v3, vcc_lo
	s_waitcnt vmcnt(2)
	v_cmp_neq_f16_e32 vcc_lo, 0, v13
	v_cndmask_b32_e32 v2, v2, v11, vcc_lo
	v_cndmask_b32_e32 v3, v3, v12, vcc_lo
	v_add_co_u32 v11, vcc_lo, v2, 1
	v_add_co_ci_u32_e64 v12, null, 0, v3, vcc_lo
	s_waitcnt vmcnt(1)
	v_cmp_neq_f16_e32 vcc_lo, 0, v14
	v_cndmask_b32_e32 v2, v2, v11, vcc_lo
	v_cndmask_b32_e32 v3, v3, v12, vcc_lo
	v_add_co_u32 v11, vcc_lo, v2, 1
	v_add_co_ci_u32_e64 v12, null, 0, v3, vcc_lo
	s_waitcnt vmcnt(0)
	v_cmp_neq_f16_e32 vcc_lo, 0, v10
	v_cndmask_b32_e32 v3, v3, v12, vcc_lo
	v_cndmask_b32_e32 v2, v2, v11, vcc_lo
	v_mov_b32_e32 v17, v9
	v_mov_b32_e32 v16, v8
	;; [unrolled: 1-line block ×8, first 2 shown]
.LBB26_12:                              ;   in Loop: Header=BB26_4 Depth=1
	v_mov_b32_e32 v2, v10
	v_mov_b32_e32 v3, v11
	;; [unrolled: 1-line block ×8, first 2 shown]
	s_or_b32 exec_lo, exec_lo, s4
	s_and_saveexec_b32 s4, s1
	s_cbranch_execz .LBB26_6
.LBB26_13:                              ;   in Loop: Header=BB26_4 Depth=1
	s_andn2_b32 vcc_lo, exec_lo, s25
	s_mov_b32 s26, -1
                                        ; implicit-def: $vgpr10_vgpr11_vgpr12_vgpr13_vgpr14_vgpr15_vgpr16_vgpr17
	s_cbranch_vccnz .LBB26_15
; %bb.14:                               ;   in Loop: Header=BB26_4 Depth=1
	v_add_co_u32 v10, vcc_lo, s12, v30
	v_add_co_ci_u32_e64 v11, null, s13, v31, vcc_lo
	v_mov_b32_e32 v16, v8
	s_mov_b32 s26, 0
	global_load_dwordx2 v[11:12], v[10:11], off
	v_add_co_u32 v10, vcc_lo, v4, 1
	v_add_co_ci_u32_e64 v13, null, 0, v5, vcc_lo
	s_waitcnt vmcnt(0)
	v_cmp_neq_f16_e32 vcc_lo, 0, v11
	v_cndmask_b32_e32 v10, v4, v10, vcc_lo
	v_cndmask_b32_e32 v13, v5, v13, vcc_lo
	v_add_co_u32 v14, vcc_lo, v10, 1
	v_add_co_ci_u32_e64 v15, null, 0, v13, vcc_lo
	v_cmp_neq_f16_sdwa vcc_lo, v11, v21 src0_sel:WORD_1 src1_sel:DWORD
	v_cndmask_b32_e32 v10, v10, v14, vcc_lo
	v_cndmask_b32_e32 v11, v13, v15, vcc_lo
	v_mov_b32_e32 v15, v7
	v_add_co_u32 v13, vcc_lo, v10, 1
	v_add_co_ci_u32_e64 v14, null, 0, v11, vcc_lo
	v_cmp_neq_f16_e32 vcc_lo, 0, v12
	v_cndmask_b32_e32 v41, v10, v13, vcc_lo
	v_cndmask_b32_e32 v17, v11, v14, vcc_lo
	v_mov_b32_e32 v10, v2
	v_mov_b32_e32 v11, v3
	;; [unrolled: 1-line block ×3, first 2 shown]
	v_add_co_u32 v42, vcc_lo, v41, 1
	v_add_co_ci_u32_e64 v13, null, 0, v17, vcc_lo
	v_cmp_neq_f16_sdwa vcc_lo, v12, v21 src0_sel:WORD_1 src1_sel:DWORD
	v_cndmask_b32_e32 v13, v17, v13, vcc_lo
	v_cndmask_b32_e32 v12, v41, v42, vcc_lo
	v_mov_b32_e32 v17, v9
.LBB26_15:                              ;   in Loop: Header=BB26_4 Depth=1
	s_andn2_b32 vcc_lo, exec_lo, s26
	s_cbranch_vccnz .LBB26_17
; %bb.16:                               ;   in Loop: Header=BB26_4 Depth=1
	v_add_co_u32 v10, vcc_lo, s12, v39
	v_add_co_ci_u32_e64 v11, null, s13, v40, vcc_lo
	global_load_ushort v12, v[10:11], off offset:128
	v_add_co_u32 v10, vcc_lo, s12, v27
	v_add_co_ci_u32_e64 v11, null, s13, v38, vcc_lo
	global_load_ushort v13, v[10:11], off offset:128
	;; [unrolled: 3-line block ×4, first 2 shown]
	v_add_co_u32 v11, vcc_lo, v4, 1
	v_add_co_ci_u32_e64 v15, null, 0, v5, vcc_lo
	s_waitcnt vmcnt(3)
	v_cmp_neq_f16_e32 vcc_lo, 0, v12
	v_cndmask_b32_e32 v4, v4, v11, vcc_lo
	v_cndmask_b32_e32 v5, v5, v15, vcc_lo
	v_add_co_u32 v11, vcc_lo, v4, 1
	v_add_co_ci_u32_e64 v12, null, 0, v5, vcc_lo
	s_waitcnt vmcnt(2)
	v_cmp_neq_f16_e32 vcc_lo, 0, v13
	v_cndmask_b32_e32 v4, v4, v11, vcc_lo
	v_cndmask_b32_e32 v5, v5, v12, vcc_lo
	;; [unrolled: 6-line block ×4, first 2 shown]
	v_mov_b32_e32 v17, v9
	v_mov_b32_e32 v16, v8
	;; [unrolled: 1-line block ×8, first 2 shown]
.LBB26_17:                              ;   in Loop: Header=BB26_4 Depth=1
	v_mov_b32_e32 v2, v10
	v_mov_b32_e32 v3, v11
	;; [unrolled: 1-line block ×8, first 2 shown]
	s_or_b32 exec_lo, exec_lo, s4
	s_and_saveexec_b32 s4, s2
	s_cbranch_execz .LBB26_7
.LBB26_18:                              ;   in Loop: Header=BB26_4 Depth=1
	s_andn2_b32 vcc_lo, exec_lo, s25
	s_mov_b32 s26, -1
                                        ; implicit-def: $vgpr10_vgpr11_vgpr12_vgpr13_vgpr14_vgpr15_vgpr16_vgpr17
	s_cbranch_vccnz .LBB26_20
; %bb.19:                               ;   in Loop: Header=BB26_4 Depth=1
	v_add_co_u32 v10, vcc_lo, s12, v34
	v_add_co_ci_u32_e64 v11, null, s13, v35, vcc_lo
	v_mov_b32_e32 v16, v8
	s_mov_b32 s26, 0
	global_load_dwordx2 v[11:12], v[10:11], off
	v_add_co_u32 v10, vcc_lo, v6, 1
	v_add_co_ci_u32_e64 v13, null, 0, v7, vcc_lo
	s_waitcnt vmcnt(0)
	v_cmp_neq_f16_e32 vcc_lo, 0, v11
	v_cndmask_b32_e32 v10, v6, v10, vcc_lo
	v_cndmask_b32_e32 v13, v7, v13, vcc_lo
	v_add_co_u32 v14, vcc_lo, v10, 1
	v_add_co_ci_u32_e64 v15, null, 0, v13, vcc_lo
	v_cmp_neq_f16_sdwa vcc_lo, v11, v21 src0_sel:WORD_1 src1_sel:DWORD
	v_cndmask_b32_e32 v10, v10, v14, vcc_lo
	v_cndmask_b32_e32 v11, v13, v15, vcc_lo
	v_add_co_u32 v13, vcc_lo, v10, 1
	v_add_co_ci_u32_e64 v14, null, 0, v11, vcc_lo
	v_cmp_neq_f16_e32 vcc_lo, 0, v12
	v_cndmask_b32_e32 v17, v10, v13, vcc_lo
	v_cndmask_b32_e32 v14, v11, v14, vcc_lo
	v_mov_b32_e32 v10, v2
	v_mov_b32_e32 v11, v3
	v_mov_b32_e32 v13, v5
	v_add_co_u32 v41, vcc_lo, v17, 1
	v_add_co_ci_u32_e64 v15, null, 0, v14, vcc_lo
	v_cmp_neq_f16_sdwa vcc_lo, v12, v21 src0_sel:WORD_1 src1_sel:DWORD
	v_mov_b32_e32 v12, v4
	v_cndmask_b32_e32 v15, v14, v15, vcc_lo
	v_cndmask_b32_e32 v14, v17, v41, vcc_lo
	v_mov_b32_e32 v17, v9
.LBB26_20:                              ;   in Loop: Header=BB26_4 Depth=1
	s_andn2_b32 vcc_lo, exec_lo, s26
	s_cbranch_vccnz .LBB26_22
; %bb.21:                               ;   in Loop: Header=BB26_4 Depth=1
	v_add_co_u32 v10, vcc_lo, s12, v39
	v_add_co_ci_u32_e64 v11, null, s13, v40, vcc_lo
	global_load_ushort v12, v[10:11], off offset:256
	v_add_co_u32 v10, vcc_lo, s12, v27
	v_add_co_ci_u32_e64 v11, null, s13, v38, vcc_lo
	global_load_ushort v13, v[10:11], off offset:256
	;; [unrolled: 3-line block ×4, first 2 shown]
	v_add_co_u32 v11, vcc_lo, v6, 1
	v_add_co_ci_u32_e64 v15, null, 0, v7, vcc_lo
	s_waitcnt vmcnt(3)
	v_cmp_neq_f16_e32 vcc_lo, 0, v12
	v_cndmask_b32_e32 v6, v6, v11, vcc_lo
	v_cndmask_b32_e32 v7, v7, v15, vcc_lo
	v_add_co_u32 v11, vcc_lo, v6, 1
	v_add_co_ci_u32_e64 v12, null, 0, v7, vcc_lo
	s_waitcnt vmcnt(2)
	v_cmp_neq_f16_e32 vcc_lo, 0, v13
	v_cndmask_b32_e32 v6, v6, v11, vcc_lo
	v_cndmask_b32_e32 v7, v7, v12, vcc_lo
	;; [unrolled: 6-line block ×4, first 2 shown]
	v_mov_b32_e32 v17, v9
	v_mov_b32_e32 v16, v8
	;; [unrolled: 1-line block ×8, first 2 shown]
.LBB26_22:                              ;   in Loop: Header=BB26_4 Depth=1
	v_mov_b32_e32 v2, v10
	v_mov_b32_e32 v3, v11
	;; [unrolled: 1-line block ×8, first 2 shown]
	s_or_b32 exec_lo, exec_lo, s4
	s_and_saveexec_b32 s4, s3
	s_cbranch_execz .LBB26_3
.LBB26_23:                              ;   in Loop: Header=BB26_4 Depth=1
	s_andn2_b32 vcc_lo, exec_lo, s25
	s_mov_b32 s26, -1
                                        ; implicit-def: $vgpr10_vgpr11_vgpr12_vgpr13_vgpr14_vgpr15_vgpr16_vgpr17
	s_cbranch_vccnz .LBB26_25
; %bb.24:                               ;   in Loop: Header=BB26_4 Depth=1
	v_add_co_u32 v10, vcc_lo, s12, v26
	v_add_co_ci_u32_e64 v11, null, s13, v28, vcc_lo
	s_mov_b32 s26, 0
	global_load_dwordx2 v[11:12], v[10:11], off
	v_add_co_u32 v10, vcc_lo, v8, 1
	v_add_co_ci_u32_e64 v13, null, 0, v9, vcc_lo
	s_waitcnt vmcnt(0)
	v_cmp_neq_f16_e32 vcc_lo, 0, v11
	v_cndmask_b32_e32 v10, v8, v10, vcc_lo
	v_cndmask_b32_e32 v13, v9, v13, vcc_lo
	v_add_co_u32 v14, vcc_lo, v10, 1
	v_add_co_ci_u32_e64 v15, null, 0, v13, vcc_lo
	v_cmp_neq_f16_sdwa vcc_lo, v11, v21 src0_sel:WORD_1 src1_sel:DWORD
	v_cndmask_b32_e32 v10, v10, v14, vcc_lo
	v_cndmask_b32_e32 v11, v13, v15, vcc_lo
	v_add_co_u32 v13, vcc_lo, v10, 1
	v_add_co_ci_u32_e64 v14, null, 0, v11, vcc_lo
	v_cmp_neq_f16_e32 vcc_lo, 0, v12
	v_cndmask_b32_e32 v16, v10, v13, vcc_lo
	v_cndmask_b32_e32 v15, v11, v14, vcc_lo
	v_mov_b32_e32 v10, v2
	v_mov_b32_e32 v11, v3
	;; [unrolled: 1-line block ×3, first 2 shown]
	v_add_co_u32 v41, vcc_lo, v16, 1
	v_add_co_ci_u32_e64 v17, null, 0, v15, vcc_lo
	v_cmp_neq_f16_sdwa vcc_lo, v12, v21 src0_sel:WORD_1 src1_sel:DWORD
	v_mov_b32_e32 v12, v4
	v_mov_b32_e32 v14, v6
	v_cndmask_b32_e32 v17, v15, v17, vcc_lo
	v_cndmask_b32_e32 v16, v16, v41, vcc_lo
	v_mov_b32_e32 v15, v7
.LBB26_25:                              ;   in Loop: Header=BB26_4 Depth=1
	s_andn2_b32 vcc_lo, exec_lo, s26
	s_cbranch_vccnz .LBB26_2
; %bb.26:                               ;   in Loop: Header=BB26_4 Depth=1
	v_add_co_u32 v10, vcc_lo, s12, v39
	v_add_co_ci_u32_e64 v11, null, s13, v40, vcc_lo
	global_load_ushort v12, v[10:11], off offset:384
	v_add_co_u32 v10, vcc_lo, s12, v27
	v_add_co_ci_u32_e64 v11, null, s13, v38, vcc_lo
	global_load_ushort v13, v[10:11], off offset:384
	;; [unrolled: 3-line block ×4, first 2 shown]
	v_add_co_u32 v11, vcc_lo, v8, 1
	v_add_co_ci_u32_e64 v15, null, 0, v9, vcc_lo
	s_waitcnt vmcnt(3)
	v_cmp_neq_f16_e32 vcc_lo, 0, v12
	v_cndmask_b32_e32 v8, v8, v11, vcc_lo
	v_cndmask_b32_e32 v9, v9, v15, vcc_lo
	v_add_co_u32 v11, vcc_lo, v8, 1
	v_add_co_ci_u32_e64 v12, null, 0, v9, vcc_lo
	s_waitcnt vmcnt(2)
	v_cmp_neq_f16_e32 vcc_lo, 0, v13
	v_cndmask_b32_e32 v8, v8, v11, vcc_lo
	v_cndmask_b32_e32 v9, v9, v12, vcc_lo
	;; [unrolled: 6-line block ×4, first 2 shown]
	v_mov_b32_e32 v17, v9
	v_mov_b32_e32 v16, v8
	;; [unrolled: 1-line block ×8, first 2 shown]
	s_branch .LBB26_2
.LBB26_27:
	s_or_b32 exec_lo, exec_lo, s24
.LBB26_28:
	s_or_b32 exec_lo, exec_lo, s23
	v_cmp_lt_i64_e64 s0, s[6:7], 1
	s_and_b32 vcc_lo, exec_lo, s0
	s_cbranch_vccnz .LBB26_134
; %bb.29:
	v_lshlrev_b64 v[10:11], 1, v[18:19]
	v_lshlrev_b64 v[26:27], 1, v[20:21]
	s_cmp_lg_u32 s22, 1
	s_mov_b32 s2, exec_lo
	s_cselect_b32 s1, -1, 0
	v_add_co_u32 v34, s0, s12, v10
	v_add_co_ci_u32_e64 v35, null, s13, v11, s0
	v_cmpx_gt_i64_e64 s[8:9], v[20:21]
	s_cbranch_execz .LBB26_55
; %bb.30:
	v_mad_u64_u32 v[10:11], null, v20, s14, 0
	v_mov_b32_e32 v1, v11
	v_mad_u64_u32 v[11:12], null, v20, s15, v[1:2]
	v_lshlrev_b64 v[10:11], 1, v[10:11]
	v_add_co_u32 v28, s0, v34, v10
	v_add_co_ci_u32_e64 v29, null, v35, v11, s0
	v_add_co_u32 v1, s0, s12, v26
	v_add_co_ci_u32_e64 v20, null, s13, v27, s0
	s_mov_b32 s0, exec_lo
	v_cmpx_gt_i64_e64 s[10:11], v[18:19]
	s_cbranch_execz .LBB26_36
; %bb.31:
	s_and_b32 vcc_lo, exec_lo, s1
	s_cbranch_vccz .LBB26_33
; %bb.32:
	global_load_ushort v10, v[28:29], off
	s_waitcnt vmcnt(0)
	v_cmp_neq_f16_e32 vcc_lo, 0, v10
	v_cndmask_b32_e64 v10, 0, 1, vcc_lo
	v_add_co_u32 v23, vcc_lo, v2, v10
	v_add_co_ci_u32_e64 v25, null, 0, v3, vcc_lo
	v_mov_b32_e32 v17, v9
	v_mov_b32_e32 v11, v3
	;; [unrolled: 1-line block ×10, first 2 shown]
	s_cbranch_execz .LBB26_34
	s_branch .LBB26_35
.LBB26_33:
                                        ; implicit-def: $vgpr10_vgpr11_vgpr12_vgpr13_vgpr14_vgpr15_vgpr16_vgpr17
.LBB26_34:
	v_mul_lo_u32 v12, v19, s14
	v_mul_lo_u32 v13, v18, s15
	v_mad_u64_u32 v[10:11], null, v18, s14, 0
	v_add3_u32 v11, v11, v13, v12
	v_lshlrev_b64 v[10:11], 1, v[10:11]
	v_add_co_u32 v10, vcc_lo, v1, v10
	v_add_co_ci_u32_e64 v11, null, v20, v11, vcc_lo
	global_load_ushort v10, v[10:11], off
	s_waitcnt vmcnt(0)
	v_cmp_neq_f16_e32 vcc_lo, 0, v10
	v_cndmask_b32_e64 v10, 0, 1, vcc_lo
	v_add_co_u32 v2, vcc_lo, v2, v10
	v_add_co_ci_u32_e64 v3, null, 0, v3, vcc_lo
	v_mov_b32_e32 v17, v9
	v_mov_b32_e32 v16, v8
	;; [unrolled: 1-line block ×8, first 2 shown]
.LBB26_35:
	v_mov_b32_e32 v2, v10
	v_mov_b32_e32 v3, v11
	v_mov_b32_e32 v4, v12
	v_mov_b32_e32 v5, v13
	v_mov_b32_e32 v6, v14
	v_mov_b32_e32 v7, v15
	v_mov_b32_e32 v8, v16
	v_mov_b32_e32 v9, v17
.LBB26_36:
	s_or_b32 exec_lo, exec_lo, s0
	v_or_b32_e32 v30, 1, v18
	v_mov_b32_e32 v31, v19
	s_mov_b32 s0, exec_lo
	v_cmpx_gt_i64_e64 s[10:11], v[30:31]
	s_cbranch_execz .LBB26_42
; %bb.37:
	s_andn2_b32 vcc_lo, exec_lo, s1
	s_cbranch_vccnz .LBB26_39
; %bb.38:
	global_load_ushort v10, v[28:29], off offset:2
	s_waitcnt vmcnt(0)
	v_cmp_neq_f16_e32 vcc_lo, 0, v10
	v_cndmask_b32_e64 v10, 0, 1, vcc_lo
	v_add_co_u32 v23, vcc_lo, v2, v10
	v_add_co_ci_u32_e64 v25, null, 0, v3, vcc_lo
	v_mov_b32_e32 v17, v9
	v_mov_b32_e32 v11, v3
	v_mov_b32_e32 v10, v2
	v_mov_b32_e32 v16, v8
	v_mov_b32_e32 v15, v7
	v_mov_b32_e32 v14, v6
	v_mov_b32_e32 v13, v5
	v_mov_b32_e32 v12, v4
	v_mov_b32_e32 v10, v23
	v_mov_b32_e32 v11, v25
	s_cbranch_execz .LBB26_40
	s_branch .LBB26_41
.LBB26_39:
                                        ; implicit-def: $vgpr10_vgpr11_vgpr12_vgpr13_vgpr14_vgpr15_vgpr16_vgpr17
.LBB26_40:
	v_mul_lo_u32 v12, v31, s14
	v_mul_lo_u32 v13, v30, s15
	v_mad_u64_u32 v[10:11], null, v30, s14, 0
	v_add3_u32 v11, v11, v13, v12
	v_lshlrev_b64 v[10:11], 1, v[10:11]
	v_add_co_u32 v10, vcc_lo, v1, v10
	v_add_co_ci_u32_e64 v11, null, v20, v11, vcc_lo
	global_load_ushort v10, v[10:11], off
	s_waitcnt vmcnt(0)
	v_cmp_neq_f16_e32 vcc_lo, 0, v10
	v_cndmask_b32_e64 v10, 0, 1, vcc_lo
	v_add_co_u32 v2, vcc_lo, v2, v10
	v_add_co_ci_u32_e64 v3, null, 0, v3, vcc_lo
	v_mov_b32_e32 v17, v9
	v_mov_b32_e32 v16, v8
	v_mov_b32_e32 v15, v7
	v_mov_b32_e32 v14, v6
	v_mov_b32_e32 v13, v5
	v_mov_b32_e32 v12, v4
	v_mov_b32_e32 v11, v3
	v_mov_b32_e32 v10, v2
.LBB26_41:
	v_mov_b32_e32 v2, v10
	v_mov_b32_e32 v3, v11
	v_mov_b32_e32 v4, v12
	v_mov_b32_e32 v5, v13
	v_mov_b32_e32 v6, v14
	v_mov_b32_e32 v7, v15
	v_mov_b32_e32 v8, v16
	v_mov_b32_e32 v9, v17
.LBB26_42:
	s_or_b32 exec_lo, exec_lo, s0
	v_or_b32_e32 v30, 2, v18
	v_mov_b32_e32 v31, v19
	s_mov_b32 s0, exec_lo
	v_cmpx_gt_i64_e64 s[10:11], v[30:31]
	s_cbranch_execz .LBB26_48
; %bb.43:
	s_andn2_b32 vcc_lo, exec_lo, s1
	s_cbranch_vccnz .LBB26_45
; %bb.44:
	global_load_ushort v10, v[28:29], off offset:4
	s_waitcnt vmcnt(0)
	v_cmp_neq_f16_e32 vcc_lo, 0, v10
	v_cndmask_b32_e64 v10, 0, 1, vcc_lo
	v_add_co_u32 v23, vcc_lo, v2, v10
	v_add_co_ci_u32_e64 v25, null, 0, v3, vcc_lo
	v_mov_b32_e32 v17, v9
	v_mov_b32_e32 v11, v3
	v_mov_b32_e32 v10, v2
	v_mov_b32_e32 v16, v8
	v_mov_b32_e32 v15, v7
	v_mov_b32_e32 v14, v6
	v_mov_b32_e32 v13, v5
	v_mov_b32_e32 v12, v4
	v_mov_b32_e32 v10, v23
	v_mov_b32_e32 v11, v25
	s_cbranch_execz .LBB26_46
	s_branch .LBB26_47
.LBB26_45:
                                        ; implicit-def: $vgpr10_vgpr11_vgpr12_vgpr13_vgpr14_vgpr15_vgpr16_vgpr17
.LBB26_46:
	v_mul_lo_u32 v12, v31, s14
	v_mul_lo_u32 v13, v30, s15
	v_mad_u64_u32 v[10:11], null, v30, s14, 0
	v_add3_u32 v11, v11, v13, v12
	v_lshlrev_b64 v[10:11], 1, v[10:11]
	v_add_co_u32 v10, vcc_lo, v1, v10
	v_add_co_ci_u32_e64 v11, null, v20, v11, vcc_lo
	global_load_ushort v10, v[10:11], off
	s_waitcnt vmcnt(0)
	v_cmp_neq_f16_e32 vcc_lo, 0, v10
	v_cndmask_b32_e64 v10, 0, 1, vcc_lo
	v_add_co_u32 v2, vcc_lo, v2, v10
	v_add_co_ci_u32_e64 v3, null, 0, v3, vcc_lo
	v_mov_b32_e32 v17, v9
	v_mov_b32_e32 v16, v8
	v_mov_b32_e32 v15, v7
	v_mov_b32_e32 v14, v6
	v_mov_b32_e32 v13, v5
	v_mov_b32_e32 v12, v4
	v_mov_b32_e32 v11, v3
	v_mov_b32_e32 v10, v2
.LBB26_47:
	v_mov_b32_e32 v2, v10
	v_mov_b32_e32 v3, v11
	v_mov_b32_e32 v4, v12
	v_mov_b32_e32 v5, v13
	v_mov_b32_e32 v6, v14
	v_mov_b32_e32 v7, v15
	v_mov_b32_e32 v8, v16
	v_mov_b32_e32 v9, v17
.LBB26_48:
	;; [unrolled: 62-line block ×3, first 2 shown]
	s_or_b32 exec_lo, exec_lo, s0
.LBB26_55:
	s_or_b32 exec_lo, exec_lo, s2
	v_mov_b32_e32 v25, v21
	s_mov_b32 s2, exec_lo
	v_cmpx_gt_i64_e64 s[8:9], v[24:25]
	s_cbranch_execz .LBB26_81
; %bb.56:
	v_mad_u64_u32 v[10:11], null, v24, s14, 0
	v_mov_b32_e32 v1, v11
	v_mad_u64_u32 v[11:12], null, v24, s15, v[1:2]
	v_lshlrev_b64 v[10:11], 1, v[10:11]
	v_add_co_u32 v23, s0, v34, v10
	v_add_co_ci_u32_e64 v24, null, v35, v11, s0
	v_add_co_u32 v1, s0, s12, v26
	v_add_co_ci_u32_e64 v20, null, s13, v27, s0
	s_mov_b32 s0, exec_lo
	v_cmpx_gt_i64_e64 s[10:11], v[18:19]
	s_cbranch_execz .LBB26_62
; %bb.57:
	s_andn2_b32 vcc_lo, exec_lo, s1
	s_cbranch_vccnz .LBB26_59
; %bb.58:
	global_load_ushort v10, v[23:24], off
	s_waitcnt vmcnt(0)
	v_cmp_neq_f16_e32 vcc_lo, 0, v10
	v_cndmask_b32_e64 v10, 0, 1, vcc_lo
	v_add_co_u32 v25, vcc_lo, v4, v10
	v_add_co_ci_u32_e64 v28, null, 0, v5, vcc_lo
	v_mov_b32_e32 v17, v9
	v_mov_b32_e32 v13, v5
	;; [unrolled: 1-line block ×10, first 2 shown]
	s_cbranch_execz .LBB26_60
	s_branch .LBB26_61
.LBB26_59:
                                        ; implicit-def: $vgpr10_vgpr11_vgpr12_vgpr13_vgpr14_vgpr15_vgpr16_vgpr17
.LBB26_60:
	v_mul_lo_u32 v12, v19, s14
	v_mul_lo_u32 v13, v18, s15
	v_mad_u64_u32 v[10:11], null, v18, s14, 0
	v_add3_u32 v11, v11, v13, v12
	v_lshlrev_b64 v[10:11], 1, v[10:11]
	v_add_co_u32 v10, vcc_lo, v1, v10
	v_add_co_ci_u32_e64 v11, null, v20, v11, vcc_lo
	global_load_ushort v10, v[10:11], off offset:128
	s_waitcnt vmcnt(0)
	v_cmp_neq_f16_e32 vcc_lo, 0, v10
	v_cndmask_b32_e64 v10, 0, 1, vcc_lo
	v_add_co_u32 v4, vcc_lo, v4, v10
	v_add_co_ci_u32_e64 v5, null, 0, v5, vcc_lo
	v_mov_b32_e32 v17, v9
	v_mov_b32_e32 v16, v8
	;; [unrolled: 1-line block ×8, first 2 shown]
.LBB26_61:
	v_mov_b32_e32 v2, v10
	v_mov_b32_e32 v3, v11
	;; [unrolled: 1-line block ×8, first 2 shown]
.LBB26_62:
	s_or_b32 exec_lo, exec_lo, s0
	v_or_b32_e32 v28, 1, v18
	v_mov_b32_e32 v29, v19
	s_mov_b32 s0, exec_lo
	v_cmpx_gt_i64_e64 s[10:11], v[28:29]
	s_cbranch_execz .LBB26_68
; %bb.63:
	s_andn2_b32 vcc_lo, exec_lo, s1
	s_cbranch_vccnz .LBB26_65
; %bb.64:
	global_load_ushort v10, v[23:24], off offset:2
	s_waitcnt vmcnt(0)
	v_cmp_neq_f16_e32 vcc_lo, 0, v10
	v_cndmask_b32_e64 v10, 0, 1, vcc_lo
	v_add_co_u32 v25, vcc_lo, v4, v10
	v_add_co_ci_u32_e64 v30, null, 0, v5, vcc_lo
	v_mov_b32_e32 v17, v9
	v_mov_b32_e32 v13, v5
	v_mov_b32_e32 v12, v4
	v_mov_b32_e32 v16, v8
	v_mov_b32_e32 v15, v7
	v_mov_b32_e32 v14, v6
	v_mov_b32_e32 v11, v3
	v_mov_b32_e32 v10, v2
	v_mov_b32_e32 v12, v25
	v_mov_b32_e32 v13, v30
	s_cbranch_execz .LBB26_66
	s_branch .LBB26_67
.LBB26_65:
                                        ; implicit-def: $vgpr10_vgpr11_vgpr12_vgpr13_vgpr14_vgpr15_vgpr16_vgpr17
.LBB26_66:
	v_mul_lo_u32 v12, v29, s14
	v_mul_lo_u32 v13, v28, s15
	v_mad_u64_u32 v[10:11], null, v28, s14, 0
	v_add3_u32 v11, v11, v13, v12
	v_lshlrev_b64 v[10:11], 1, v[10:11]
	v_add_co_u32 v10, vcc_lo, v1, v10
	v_add_co_ci_u32_e64 v11, null, v20, v11, vcc_lo
	global_load_ushort v10, v[10:11], off offset:128
	s_waitcnt vmcnt(0)
	v_cmp_neq_f16_e32 vcc_lo, 0, v10
	v_cndmask_b32_e64 v10, 0, 1, vcc_lo
	v_add_co_u32 v4, vcc_lo, v4, v10
	v_add_co_ci_u32_e64 v5, null, 0, v5, vcc_lo
	v_mov_b32_e32 v17, v9
	v_mov_b32_e32 v16, v8
	v_mov_b32_e32 v15, v7
	v_mov_b32_e32 v14, v6
	v_mov_b32_e32 v13, v5
	v_mov_b32_e32 v12, v4
	v_mov_b32_e32 v11, v3
	v_mov_b32_e32 v10, v2
.LBB26_67:
	v_mov_b32_e32 v2, v10
	v_mov_b32_e32 v3, v11
	v_mov_b32_e32 v4, v12
	v_mov_b32_e32 v5, v13
	v_mov_b32_e32 v6, v14
	v_mov_b32_e32 v7, v15
	v_mov_b32_e32 v8, v16
	v_mov_b32_e32 v9, v17
.LBB26_68:
	s_or_b32 exec_lo, exec_lo, s0
	v_or_b32_e32 v28, 2, v18
	v_mov_b32_e32 v29, v19
	s_mov_b32 s0, exec_lo
	v_cmpx_gt_i64_e64 s[10:11], v[28:29]
	s_cbranch_execz .LBB26_74
; %bb.69:
	s_andn2_b32 vcc_lo, exec_lo, s1
	s_cbranch_vccnz .LBB26_71
; %bb.70:
	global_load_ushort v10, v[23:24], off offset:4
	s_waitcnt vmcnt(0)
	v_cmp_neq_f16_e32 vcc_lo, 0, v10
	v_cndmask_b32_e64 v10, 0, 1, vcc_lo
	v_add_co_u32 v25, vcc_lo, v4, v10
	v_add_co_ci_u32_e64 v30, null, 0, v5, vcc_lo
	v_mov_b32_e32 v17, v9
	v_mov_b32_e32 v13, v5
	v_mov_b32_e32 v12, v4
	v_mov_b32_e32 v16, v8
	v_mov_b32_e32 v15, v7
	v_mov_b32_e32 v14, v6
	v_mov_b32_e32 v11, v3
	v_mov_b32_e32 v10, v2
	v_mov_b32_e32 v12, v25
	v_mov_b32_e32 v13, v30
	s_cbranch_execz .LBB26_72
	s_branch .LBB26_73
.LBB26_71:
                                        ; implicit-def: $vgpr10_vgpr11_vgpr12_vgpr13_vgpr14_vgpr15_vgpr16_vgpr17
.LBB26_72:
	v_mul_lo_u32 v12, v29, s14
	v_mul_lo_u32 v13, v28, s15
	v_mad_u64_u32 v[10:11], null, v28, s14, 0
	v_add3_u32 v11, v11, v13, v12
	v_lshlrev_b64 v[10:11], 1, v[10:11]
	v_add_co_u32 v10, vcc_lo, v1, v10
	v_add_co_ci_u32_e64 v11, null, v20, v11, vcc_lo
	global_load_ushort v10, v[10:11], off offset:128
	s_waitcnt vmcnt(0)
	v_cmp_neq_f16_e32 vcc_lo, 0, v10
	v_cndmask_b32_e64 v10, 0, 1, vcc_lo
	v_add_co_u32 v4, vcc_lo, v4, v10
	v_add_co_ci_u32_e64 v5, null, 0, v5, vcc_lo
	v_mov_b32_e32 v17, v9
	v_mov_b32_e32 v16, v8
	v_mov_b32_e32 v15, v7
	v_mov_b32_e32 v14, v6
	v_mov_b32_e32 v13, v5
	v_mov_b32_e32 v12, v4
	v_mov_b32_e32 v11, v3
	v_mov_b32_e32 v10, v2
.LBB26_73:
	v_mov_b32_e32 v2, v10
	v_mov_b32_e32 v3, v11
	v_mov_b32_e32 v4, v12
	v_mov_b32_e32 v5, v13
	v_mov_b32_e32 v6, v14
	v_mov_b32_e32 v7, v15
	v_mov_b32_e32 v8, v16
	v_mov_b32_e32 v9, v17
.LBB26_74:
	;; [unrolled: 62-line block ×3, first 2 shown]
	s_or_b32 exec_lo, exec_lo, s0
.LBB26_81:
	s_or_b32 exec_lo, exec_lo, s2
	v_mov_b32_e32 v23, v21
	s_mov_b32 s2, exec_lo
	v_cmpx_gt_i64_e64 s[8:9], v[22:23]
	s_cbranch_execz .LBB26_107
; %bb.82:
	v_mad_u64_u32 v[10:11], null, v22, s14, 0
	v_mov_b32_e32 v1, v11
	v_mad_u64_u32 v[11:12], null, v22, s15, v[1:2]
	v_lshlrev_b64 v[10:11], 1, v[10:11]
	v_add_co_u32 v22, s0, v34, v10
	v_add_co_ci_u32_e64 v23, null, v35, v11, s0
	v_add_co_u32 v1, s0, s12, v26
	v_add_co_ci_u32_e64 v20, null, s13, v27, s0
	s_mov_b32 s0, exec_lo
	v_cmpx_gt_i64_e64 s[10:11], v[18:19]
	s_cbranch_execz .LBB26_88
; %bb.83:
	s_andn2_b32 vcc_lo, exec_lo, s1
	s_cbranch_vccnz .LBB26_85
; %bb.84:
	global_load_ushort v10, v[22:23], off
	s_waitcnt vmcnt(0)
	v_cmp_neq_f16_e32 vcc_lo, 0, v10
	v_cndmask_b32_e64 v10, 0, 1, vcc_lo
	v_add_co_u32 v24, vcc_lo, v6, v10
	v_add_co_ci_u32_e64 v25, null, 0, v7, vcc_lo
	v_mov_b32_e32 v17, v9
	v_mov_b32_e32 v15, v7
	;; [unrolled: 1-line block ×10, first 2 shown]
	s_cbranch_execz .LBB26_86
	s_branch .LBB26_87
.LBB26_85:
                                        ; implicit-def: $vgpr10_vgpr11_vgpr12_vgpr13_vgpr14_vgpr15_vgpr16_vgpr17
.LBB26_86:
	v_mul_lo_u32 v12, v19, s14
	v_mul_lo_u32 v13, v18, s15
	v_mad_u64_u32 v[10:11], null, v18, s14, 0
	v_add3_u32 v11, v11, v13, v12
	v_lshlrev_b64 v[10:11], 1, v[10:11]
	v_add_co_u32 v10, vcc_lo, v1, v10
	v_add_co_ci_u32_e64 v11, null, v20, v11, vcc_lo
	global_load_ushort v10, v[10:11], off offset:256
	s_waitcnt vmcnt(0)
	v_cmp_neq_f16_e32 vcc_lo, 0, v10
	v_cndmask_b32_e64 v10, 0, 1, vcc_lo
	v_add_co_u32 v6, vcc_lo, v6, v10
	v_add_co_ci_u32_e64 v7, null, 0, v7, vcc_lo
	v_mov_b32_e32 v17, v9
	v_mov_b32_e32 v16, v8
	;; [unrolled: 1-line block ×8, first 2 shown]
.LBB26_87:
	v_mov_b32_e32 v2, v10
	v_mov_b32_e32 v3, v11
	;; [unrolled: 1-line block ×8, first 2 shown]
.LBB26_88:
	s_or_b32 exec_lo, exec_lo, s0
	v_or_b32_e32 v24, 1, v18
	v_mov_b32_e32 v25, v19
	s_mov_b32 s0, exec_lo
	v_cmpx_gt_i64_e64 s[10:11], v[24:25]
	s_cbranch_execz .LBB26_94
; %bb.89:
	s_andn2_b32 vcc_lo, exec_lo, s1
	s_cbranch_vccnz .LBB26_91
; %bb.90:
	global_load_ushort v10, v[22:23], off offset:2
	s_waitcnt vmcnt(0)
	v_cmp_neq_f16_e32 vcc_lo, 0, v10
	v_cndmask_b32_e64 v10, 0, 1, vcc_lo
	v_add_co_u32 v28, vcc_lo, v6, v10
	v_add_co_ci_u32_e64 v29, null, 0, v7, vcc_lo
	v_mov_b32_e32 v17, v9
	v_mov_b32_e32 v15, v7
	v_mov_b32_e32 v14, v6
	v_mov_b32_e32 v16, v8
	v_mov_b32_e32 v13, v5
	v_mov_b32_e32 v12, v4
	v_mov_b32_e32 v11, v3
	v_mov_b32_e32 v10, v2
	v_mov_b32_e32 v14, v28
	v_mov_b32_e32 v15, v29
	s_cbranch_execz .LBB26_92
	s_branch .LBB26_93
.LBB26_91:
                                        ; implicit-def: $vgpr10_vgpr11_vgpr12_vgpr13_vgpr14_vgpr15_vgpr16_vgpr17
.LBB26_92:
	v_mul_lo_u32 v12, v25, s14
	v_mul_lo_u32 v13, v24, s15
	v_mad_u64_u32 v[10:11], null, v24, s14, 0
	v_add3_u32 v11, v11, v13, v12
	v_lshlrev_b64 v[10:11], 1, v[10:11]
	v_add_co_u32 v10, vcc_lo, v1, v10
	v_add_co_ci_u32_e64 v11, null, v20, v11, vcc_lo
	global_load_ushort v10, v[10:11], off offset:256
	s_waitcnt vmcnt(0)
	v_cmp_neq_f16_e32 vcc_lo, 0, v10
	v_cndmask_b32_e64 v10, 0, 1, vcc_lo
	v_add_co_u32 v6, vcc_lo, v6, v10
	v_add_co_ci_u32_e64 v7, null, 0, v7, vcc_lo
	v_mov_b32_e32 v17, v9
	v_mov_b32_e32 v16, v8
	v_mov_b32_e32 v14, v6
	v_mov_b32_e32 v15, v7
	v_mov_b32_e32 v13, v5
	v_mov_b32_e32 v12, v4
	v_mov_b32_e32 v11, v3
	v_mov_b32_e32 v10, v2
.LBB26_93:
	v_mov_b32_e32 v2, v10
	v_mov_b32_e32 v3, v11
	v_mov_b32_e32 v4, v12
	v_mov_b32_e32 v5, v13
	v_mov_b32_e32 v6, v14
	v_mov_b32_e32 v7, v15
	v_mov_b32_e32 v8, v16
	v_mov_b32_e32 v9, v17
.LBB26_94:
	s_or_b32 exec_lo, exec_lo, s0
	v_or_b32_e32 v24, 2, v18
	v_mov_b32_e32 v25, v19
	s_mov_b32 s0, exec_lo
	v_cmpx_gt_i64_e64 s[10:11], v[24:25]
	s_cbranch_execz .LBB26_100
; %bb.95:
	s_andn2_b32 vcc_lo, exec_lo, s1
	s_cbranch_vccnz .LBB26_97
; %bb.96:
	global_load_ushort v10, v[22:23], off offset:4
	s_waitcnt vmcnt(0)
	v_cmp_neq_f16_e32 vcc_lo, 0, v10
	v_cndmask_b32_e64 v10, 0, 1, vcc_lo
	v_add_co_u32 v28, vcc_lo, v6, v10
	v_add_co_ci_u32_e64 v29, null, 0, v7, vcc_lo
	v_mov_b32_e32 v17, v9
	v_mov_b32_e32 v15, v7
	v_mov_b32_e32 v14, v6
	v_mov_b32_e32 v16, v8
	v_mov_b32_e32 v13, v5
	v_mov_b32_e32 v12, v4
	v_mov_b32_e32 v11, v3
	v_mov_b32_e32 v10, v2
	v_mov_b32_e32 v14, v28
	v_mov_b32_e32 v15, v29
	s_cbranch_execz .LBB26_98
	s_branch .LBB26_99
.LBB26_97:
                                        ; implicit-def: $vgpr10_vgpr11_vgpr12_vgpr13_vgpr14_vgpr15_vgpr16_vgpr17
.LBB26_98:
	v_mul_lo_u32 v12, v25, s14
	v_mul_lo_u32 v13, v24, s15
	v_mad_u64_u32 v[10:11], null, v24, s14, 0
	v_add3_u32 v11, v11, v13, v12
	v_lshlrev_b64 v[10:11], 1, v[10:11]
	v_add_co_u32 v10, vcc_lo, v1, v10
	v_add_co_ci_u32_e64 v11, null, v20, v11, vcc_lo
	global_load_ushort v10, v[10:11], off offset:256
	s_waitcnt vmcnt(0)
	v_cmp_neq_f16_e32 vcc_lo, 0, v10
	v_cndmask_b32_e64 v10, 0, 1, vcc_lo
	v_add_co_u32 v6, vcc_lo, v6, v10
	v_add_co_ci_u32_e64 v7, null, 0, v7, vcc_lo
	v_mov_b32_e32 v17, v9
	v_mov_b32_e32 v16, v8
	v_mov_b32_e32 v14, v6
	v_mov_b32_e32 v15, v7
	v_mov_b32_e32 v13, v5
	v_mov_b32_e32 v12, v4
	v_mov_b32_e32 v11, v3
	v_mov_b32_e32 v10, v2
.LBB26_99:
	v_mov_b32_e32 v2, v10
	v_mov_b32_e32 v3, v11
	v_mov_b32_e32 v4, v12
	v_mov_b32_e32 v5, v13
	v_mov_b32_e32 v6, v14
	v_mov_b32_e32 v7, v15
	v_mov_b32_e32 v8, v16
	v_mov_b32_e32 v9, v17
.LBB26_100:
	;; [unrolled: 62-line block ×3, first 2 shown]
	s_or_b32 exec_lo, exec_lo, s0
.LBB26_107:
	s_or_b32 exec_lo, exec_lo, s2
	v_mov_b32_e32 v1, v21
	s_mov_b32 s2, exec_lo
	v_cmpx_gt_i64_e64 s[8:9], v[0:1]
	s_cbranch_execz .LBB26_133
; %bb.108:
	v_mad_u64_u32 v[10:11], null, v0, s14, 0
	v_add_co_u32 v22, vcc_lo, s12, v26
	v_add_co_ci_u32_e64 v23, null, s13, v27, vcc_lo
	v_cndmask_b32_e64 v24, 0, 1, s1
	v_mov_b32_e32 v1, v11
	v_mad_u64_u32 v[0:1], null, v0, s15, v[1:2]
	v_mov_b32_e32 v11, v0
	v_lshlrev_b64 v[0:1], 1, v[10:11]
	v_add_co_u32 v0, s0, v34, v0
	v_add_co_ci_u32_e64 v1, null, v35, v1, s0
	s_mov_b32 s0, exec_lo
	v_cmpx_gt_i64_e64 s[10:11], v[18:19]
	s_cbranch_execz .LBB26_114
; %bb.109:
	s_andn2_b32 vcc_lo, exec_lo, s1
	s_cbranch_vccnz .LBB26_111
; %bb.110:
	global_load_ushort v10, v[0:1], off
	s_waitcnt vmcnt(0)
	v_cmp_neq_f16_e32 vcc_lo, 0, v10
	v_cndmask_b32_e64 v10, 0, 1, vcc_lo
	v_add_co_u32 v20, vcc_lo, v8, v10
	v_add_co_ci_u32_e64 v21, null, 0, v9, vcc_lo
	v_mov_b32_e32 v17, v9
	v_mov_b32_e32 v16, v8
	;; [unrolled: 1-line block ×10, first 2 shown]
	s_cbranch_execz .LBB26_112
	s_branch .LBB26_113
.LBB26_111:
                                        ; implicit-def: $vgpr10_vgpr11_vgpr12_vgpr13_vgpr14_vgpr15_vgpr16_vgpr17
.LBB26_112:
	v_mul_lo_u32 v12, v19, s14
	v_mul_lo_u32 v13, v18, s15
	v_mad_u64_u32 v[10:11], null, v18, s14, 0
	v_add3_u32 v11, v11, v13, v12
	v_lshlrev_b64 v[10:11], 1, v[10:11]
	v_add_co_u32 v10, vcc_lo, v22, v10
	v_add_co_ci_u32_e64 v11, null, v23, v11, vcc_lo
	global_load_ushort v10, v[10:11], off offset:384
	s_waitcnt vmcnt(0)
	v_cmp_neq_f16_e32 vcc_lo, 0, v10
	v_cndmask_b32_e64 v10, 0, 1, vcc_lo
	v_add_co_u32 v8, vcc_lo, v8, v10
	v_add_co_ci_u32_e64 v9, null, 0, v9, vcc_lo
	v_mov_b32_e32 v17, v9
	v_mov_b32_e32 v16, v8
	;; [unrolled: 1-line block ×8, first 2 shown]
.LBB26_113:
	v_mov_b32_e32 v2, v10
	v_mov_b32_e32 v3, v11
	;; [unrolled: 1-line block ×8, first 2 shown]
.LBB26_114:
	s_or_b32 exec_lo, exec_lo, s0
	v_or_b32_e32 v20, 1, v18
	v_mov_b32_e32 v21, v19
	s_mov_b32 s0, exec_lo
	v_cmpx_gt_i64_e64 s[10:11], v[20:21]
	s_cbranch_execz .LBB26_120
; %bb.115:
	v_cmp_ne_u32_e32 vcc_lo, 1, v24
	s_cbranch_vccnz .LBB26_117
; %bb.116:
	global_load_ushort v10, v[0:1], off offset:2
	s_waitcnt vmcnt(0)
	v_cmp_neq_f16_e32 vcc_lo, 0, v10
	v_cndmask_b32_e64 v10, 0, 1, vcc_lo
	v_add_co_u32 v25, vcc_lo, v8, v10
	v_add_co_ci_u32_e64 v26, null, 0, v9, vcc_lo
	v_mov_b32_e32 v17, v9
	v_mov_b32_e32 v16, v8
	;; [unrolled: 1-line block ×10, first 2 shown]
	s_cbranch_execz .LBB26_118
	s_branch .LBB26_119
.LBB26_117:
                                        ; implicit-def: $vgpr10_vgpr11_vgpr12_vgpr13_vgpr14_vgpr15_vgpr16_vgpr17
.LBB26_118:
	v_mul_lo_u32 v12, v21, s14
	v_mul_lo_u32 v13, v20, s15
	v_mad_u64_u32 v[10:11], null, v20, s14, 0
	v_add3_u32 v11, v11, v13, v12
	v_lshlrev_b64 v[10:11], 1, v[10:11]
	v_add_co_u32 v10, vcc_lo, v22, v10
	v_add_co_ci_u32_e64 v11, null, v23, v11, vcc_lo
	global_load_ushort v10, v[10:11], off offset:384
	s_waitcnt vmcnt(0)
	v_cmp_neq_f16_e32 vcc_lo, 0, v10
	v_cndmask_b32_e64 v10, 0, 1, vcc_lo
	v_add_co_u32 v8, vcc_lo, v8, v10
	v_add_co_ci_u32_e64 v9, null, 0, v9, vcc_lo
	v_mov_b32_e32 v17, v9
	v_mov_b32_e32 v16, v8
	;; [unrolled: 1-line block ×8, first 2 shown]
.LBB26_119:
	v_mov_b32_e32 v2, v10
	v_mov_b32_e32 v3, v11
	;; [unrolled: 1-line block ×8, first 2 shown]
.LBB26_120:
	s_or_b32 exec_lo, exec_lo, s0
	v_or_b32_e32 v20, 2, v18
	v_mov_b32_e32 v21, v19
	s_mov_b32 s0, exec_lo
	v_cmpx_gt_i64_e64 s[10:11], v[20:21]
	s_cbranch_execz .LBB26_126
; %bb.121:
	v_cmp_ne_u32_e32 vcc_lo, 1, v24
	s_cbranch_vccnz .LBB26_123
; %bb.122:
	global_load_ushort v10, v[0:1], off offset:4
	s_waitcnt vmcnt(0)
	v_cmp_neq_f16_e32 vcc_lo, 0, v10
	v_cndmask_b32_e64 v10, 0, 1, vcc_lo
	v_add_co_u32 v25, vcc_lo, v8, v10
	v_add_co_ci_u32_e64 v26, null, 0, v9, vcc_lo
	v_mov_b32_e32 v17, v9
	v_mov_b32_e32 v16, v8
	;; [unrolled: 1-line block ×10, first 2 shown]
	s_cbranch_execz .LBB26_124
	s_branch .LBB26_125
.LBB26_123:
                                        ; implicit-def: $vgpr10_vgpr11_vgpr12_vgpr13_vgpr14_vgpr15_vgpr16_vgpr17
.LBB26_124:
	v_mul_lo_u32 v12, v21, s14
	v_mul_lo_u32 v13, v20, s15
	v_mad_u64_u32 v[10:11], null, v20, s14, 0
	v_add3_u32 v11, v11, v13, v12
	v_lshlrev_b64 v[10:11], 1, v[10:11]
	v_add_co_u32 v10, vcc_lo, v22, v10
	v_add_co_ci_u32_e64 v11, null, v23, v11, vcc_lo
	global_load_ushort v10, v[10:11], off offset:384
	s_waitcnt vmcnt(0)
	v_cmp_neq_f16_e32 vcc_lo, 0, v10
	v_cndmask_b32_e64 v10, 0, 1, vcc_lo
	v_add_co_u32 v8, vcc_lo, v8, v10
	v_add_co_ci_u32_e64 v9, null, 0, v9, vcc_lo
	v_mov_b32_e32 v17, v9
	v_mov_b32_e32 v16, v8
	;; [unrolled: 1-line block ×8, first 2 shown]
.LBB26_125:
	v_mov_b32_e32 v2, v10
	v_mov_b32_e32 v3, v11
	;; [unrolled: 1-line block ×8, first 2 shown]
.LBB26_126:
	s_or_b32 exec_lo, exec_lo, s0
	v_or_b32_e32 v18, 3, v18
	s_mov_b32 s0, exec_lo
	v_cmpx_gt_i64_e64 s[10:11], v[18:19]
	s_cbranch_execz .LBB26_132
; %bb.127:
	v_cmp_ne_u32_e32 vcc_lo, 1, v24
	s_cbranch_vccnz .LBB26_129
; %bb.128:
	global_load_ushort v0, v[0:1], off offset:6
	v_mov_b32_e32 v17, v9
	v_mov_b32_e32 v16, v8
	;; [unrolled: 1-line block ×8, first 2 shown]
	s_waitcnt vmcnt(0)
	v_cmp_neq_f16_e32 vcc_lo, 0, v0
	v_cndmask_b32_e64 v0, 0, 1, vcc_lo
	v_add_co_u32 v0, vcc_lo, v8, v0
	v_add_co_ci_u32_e64 v1, null, 0, v9, vcc_lo
	v_mov_b32_e32 v16, v0
	v_mov_b32_e32 v17, v1
	s_cbranch_execz .LBB26_130
	s_branch .LBB26_131
.LBB26_129:
                                        ; implicit-def: $vgpr10_vgpr11_vgpr12_vgpr13_vgpr14_vgpr15_vgpr16_vgpr17
.LBB26_130:
	v_mul_lo_u32 v10, v19, s14
	v_mul_lo_u32 v11, v18, s15
	v_mad_u64_u32 v[0:1], null, v18, s14, 0
	v_add3_u32 v1, v1, v11, v10
	v_lshlrev_b64 v[0:1], 1, v[0:1]
	v_add_co_u32 v0, vcc_lo, v22, v0
	v_add_co_ci_u32_e64 v1, null, v23, v1, vcc_lo
	global_load_ushort v0, v[0:1], off offset:384
	s_waitcnt vmcnt(0)
	v_cmp_neq_f16_e32 vcc_lo, 0, v0
	v_cndmask_b32_e64 v0, 0, 1, vcc_lo
	v_add_co_u32 v8, vcc_lo, v8, v0
	v_add_co_ci_u32_e64 v9, null, 0, v9, vcc_lo
	v_mov_b32_e32 v17, v9
	v_mov_b32_e32 v16, v8
	;; [unrolled: 1-line block ×8, first 2 shown]
.LBB26_131:
	v_mov_b32_e32 v2, v10
	v_mov_b32_e32 v3, v11
	;; [unrolled: 1-line block ×8, first 2 shown]
.LBB26_132:
	s_or_b32 exec_lo, exec_lo, s0
.LBB26_133:
	s_or_b32 exec_lo, exec_lo, s2
.LBB26_134:
	v_lshlrev_b32_e32 v0, 5, v32
	v_lshlrev_b32_e32 v1, 3, v33
	s_mov_b32 s0, exec_lo
	v_and_or_b32 v0, 0xfffff800, v0, v1
	ds_write2st64_b64 v0, v[2:3], v[4:5] offset1:1
	ds_write2st64_b64 v0, v[6:7], v[8:9] offset0:2 offset1:3
	s_waitcnt lgkmcnt(0)
	s_barrier
	buffer_gl0_inv
	v_cmpx_gt_u32_e32 0x100, v32
	s_cbranch_execz .LBB26_137
; %bb.135:
	v_lshlrev_b32_e32 v12, 3, v32
	ds_read2st64_b64 v[0:3], v12 offset1:4
	ds_read2st64_b64 v[4:7], v12 offset0:8 offset1:12
	ds_read2st64_b64 v[8:11], v12 offset0:16 offset1:20
	s_waitcnt lgkmcnt(2)
	v_add_co_u32 v13, vcc_lo, v0, v2
	v_add_co_ci_u32_e64 v14, null, v1, v3, vcc_lo
	ds_read2st64_b64 v[0:3], v12 offset0:24 offset1:28
	s_waitcnt lgkmcnt(2)
	v_add_co_u32 v4, vcc_lo, v13, v4
	v_add_co_ci_u32_e64 v5, null, v14, v5, vcc_lo
	v_add_co_u32 v13, vcc_lo, v4, v6
	v_add_co_ci_u32_e64 v14, null, v5, v7, vcc_lo
	ds_read2st64_b64 v[4:7], v12 offset0:32 offset1:36
	s_waitcnt lgkmcnt(2)
	v_add_co_u32 v8, vcc_lo, v13, v8
	v_add_co_ci_u32_e64 v9, null, v14, v9, vcc_lo
	;; [unrolled: 6-line block ×5, first 2 shown]
	v_add_co_u32 v8, vcc_lo, v8, v10
	v_add_co_ci_u32_e64 v9, null, v9, v11, vcc_lo
	s_waitcnt lgkmcnt(1)
	v_add_co_u32 v0, vcc_lo, v8, v0
	v_add_co_ci_u32_e64 v1, null, v9, v1, vcc_lo
	v_add_co_u32 v0, vcc_lo, v0, v2
	v_add_co_ci_u32_e64 v1, null, v1, v3, vcc_lo
	v_add_co_u32 v2, s0, v32, s5
	s_waitcnt lgkmcnt(0)
	v_add_co_u32 v0, vcc_lo, v0, v4
	v_add_co_ci_u32_e64 v1, null, v1, v5, vcc_lo
	v_add_co_ci_u32_e64 v3, null, 0, 0, s0
	v_add_co_u32 v0, vcc_lo, v0, v6
	v_add_co_ci_u32_e64 v1, null, v1, v7, vcc_lo
	v_cmp_gt_i64_e32 vcc_lo, s[8:9], v[2:3]
	ds_write_b64 v12, v[0:1]
	s_and_b32 exec_lo, exec_lo, vcc_lo
	s_cbranch_execz .LBB26_137
; %bb.136:
	v_lshlrev_b64 v[2:3], 3, v[2:3]
	v_add_co_u32 v2, vcc_lo, s16, v2
	v_add_co_ci_u32_e64 v3, null, s17, v3, vcc_lo
	global_store_dwordx2 v[2:3], v[0:1], off
.LBB26_137:
	s_endpgm
	.section	.rodata,"a",@progbits
	.p2align	6, 0x0
	.amdhsa_kernel _ZN9rocsparseL14nnz_kernel_rowILi64ELi16EllDF16_EEv16rocsparse_order_T2_S2_PKT3_lPT1_
		.amdhsa_group_segment_fixed_size 32768
		.amdhsa_private_segment_fixed_size 0
		.amdhsa_kernarg_size 304
		.amdhsa_user_sgpr_count 6
		.amdhsa_user_sgpr_private_segment_buffer 1
		.amdhsa_user_sgpr_dispatch_ptr 0
		.amdhsa_user_sgpr_queue_ptr 0
		.amdhsa_user_sgpr_kernarg_segment_ptr 1
		.amdhsa_user_sgpr_dispatch_id 0
		.amdhsa_user_sgpr_flat_scratch_init 0
		.amdhsa_user_sgpr_private_segment_size 0
		.amdhsa_wavefront_size32 1
		.amdhsa_uses_dynamic_stack 0
		.amdhsa_system_sgpr_private_segment_wavefront_offset 0
		.amdhsa_system_sgpr_workgroup_id_x 1
		.amdhsa_system_sgpr_workgroup_id_y 0
		.amdhsa_system_sgpr_workgroup_id_z 0
		.amdhsa_system_sgpr_workgroup_info 0
		.amdhsa_system_vgpr_workitem_id 1
		.amdhsa_next_free_vgpr 43
		.amdhsa_next_free_sgpr 27
		.amdhsa_reserve_vcc 1
		.amdhsa_reserve_flat_scratch 0
		.amdhsa_float_round_mode_32 0
		.amdhsa_float_round_mode_16_64 0
		.amdhsa_float_denorm_mode_32 3
		.amdhsa_float_denorm_mode_16_64 3
		.amdhsa_dx10_clamp 1
		.amdhsa_ieee_mode 1
		.amdhsa_fp16_overflow 0
		.amdhsa_workgroup_processor_mode 1
		.amdhsa_memory_ordered 1
		.amdhsa_forward_progress 1
		.amdhsa_shared_vgpr_count 0
		.amdhsa_exception_fp_ieee_invalid_op 0
		.amdhsa_exception_fp_denorm_src 0
		.amdhsa_exception_fp_ieee_div_zero 0
		.amdhsa_exception_fp_ieee_overflow 0
		.amdhsa_exception_fp_ieee_underflow 0
		.amdhsa_exception_fp_ieee_inexact 0
		.amdhsa_exception_int_div_zero 0
	.end_amdhsa_kernel
	.section	.text._ZN9rocsparseL14nnz_kernel_rowILi64ELi16EllDF16_EEv16rocsparse_order_T2_S2_PKT3_lPT1_,"axG",@progbits,_ZN9rocsparseL14nnz_kernel_rowILi64ELi16EllDF16_EEv16rocsparse_order_T2_S2_PKT3_lPT1_,comdat
.Lfunc_end26:
	.size	_ZN9rocsparseL14nnz_kernel_rowILi64ELi16EllDF16_EEv16rocsparse_order_T2_S2_PKT3_lPT1_, .Lfunc_end26-_ZN9rocsparseL14nnz_kernel_rowILi64ELi16EllDF16_EEv16rocsparse_order_T2_S2_PKT3_lPT1_
                                        ; -- End function
	.set _ZN9rocsparseL14nnz_kernel_rowILi64ELi16EllDF16_EEv16rocsparse_order_T2_S2_PKT3_lPT1_.num_vgpr, 43
	.set _ZN9rocsparseL14nnz_kernel_rowILi64ELi16EllDF16_EEv16rocsparse_order_T2_S2_PKT3_lPT1_.num_agpr, 0
	.set _ZN9rocsparseL14nnz_kernel_rowILi64ELi16EllDF16_EEv16rocsparse_order_T2_S2_PKT3_lPT1_.numbered_sgpr, 27
	.set _ZN9rocsparseL14nnz_kernel_rowILi64ELi16EllDF16_EEv16rocsparse_order_T2_S2_PKT3_lPT1_.num_named_barrier, 0
	.set _ZN9rocsparseL14nnz_kernel_rowILi64ELi16EllDF16_EEv16rocsparse_order_T2_S2_PKT3_lPT1_.private_seg_size, 0
	.set _ZN9rocsparseL14nnz_kernel_rowILi64ELi16EllDF16_EEv16rocsparse_order_T2_S2_PKT3_lPT1_.uses_vcc, 1
	.set _ZN9rocsparseL14nnz_kernel_rowILi64ELi16EllDF16_EEv16rocsparse_order_T2_S2_PKT3_lPT1_.uses_flat_scratch, 0
	.set _ZN9rocsparseL14nnz_kernel_rowILi64ELi16EllDF16_EEv16rocsparse_order_T2_S2_PKT3_lPT1_.has_dyn_sized_stack, 0
	.set _ZN9rocsparseL14nnz_kernel_rowILi64ELi16EllDF16_EEv16rocsparse_order_T2_S2_PKT3_lPT1_.has_recursion, 0
	.set _ZN9rocsparseL14nnz_kernel_rowILi64ELi16EllDF16_EEv16rocsparse_order_T2_S2_PKT3_lPT1_.has_indirect_call, 0
	.section	.AMDGPU.csdata,"",@progbits
; Kernel info:
; codeLenInByte = 8324
; TotalNumSgprs: 29
; NumVgprs: 43
; ScratchSize: 0
; MemoryBound: 0
; FloatMode: 240
; IeeeMode: 1
; LDSByteSize: 32768 bytes/workgroup (compile time only)
; SGPRBlocks: 0
; VGPRBlocks: 5
; NumSGPRsForWavesPerEU: 29
; NumVGPRsForWavesPerEU: 43
; Occupancy: 16
; WaveLimiterHint : 0
; COMPUTE_PGM_RSRC2:SCRATCH_EN: 0
; COMPUTE_PGM_RSRC2:USER_SGPR: 6
; COMPUTE_PGM_RSRC2:TRAP_HANDLER: 0
; COMPUTE_PGM_RSRC2:TGID_X_EN: 1
; COMPUTE_PGM_RSRC2:TGID_Y_EN: 0
; COMPUTE_PGM_RSRC2:TGID_Z_EN: 0
; COMPUTE_PGM_RSRC2:TIDIG_COMP_CNT: 1
	.section	.text._ZN9rocsparseL14nnz_kernel_colILi256EllDF16_EEv16rocsparse_order_T1_S2_PKT2_lPT0_,"axG",@progbits,_ZN9rocsparseL14nnz_kernel_colILi256EllDF16_EEv16rocsparse_order_T1_S2_PKT2_lPT0_,comdat
	.globl	_ZN9rocsparseL14nnz_kernel_colILi256EllDF16_EEv16rocsparse_order_T1_S2_PKT2_lPT0_ ; -- Begin function _ZN9rocsparseL14nnz_kernel_colILi256EllDF16_EEv16rocsparse_order_T1_S2_PKT2_lPT0_
	.p2align	8
	.type	_ZN9rocsparseL14nnz_kernel_colILi256EllDF16_EEv16rocsparse_order_T1_S2_PKT2_lPT0_,@function
_ZN9rocsparseL14nnz_kernel_colILi256EllDF16_EEv16rocsparse_order_T1_S2_PKT2_lPT0_: ; @_ZN9rocsparseL14nnz_kernel_colILi256EllDF16_EEv16rocsparse_order_T1_S2_PKT2_lPT0_
; %bb.0:
	s_clause 0x2
	s_load_dwordx2 s[8:9], s[4:5], 0x8
	s_load_dword s7, s[4:5], 0x0
	s_load_dwordx4 s[0:3], s[4:5], 0x18
	v_mov_b32_e32 v1, 0
	s_waitcnt lgkmcnt(0)
	s_ashr_i32 s10, s9, 31
	v_cmp_gt_i64_e64 s12, 0x100, s[8:9]
	s_lshr_b32 s10, s10, 24
	s_add_u32 s10, s8, s10
	s_addc_u32 s11, s9, 0
	s_and_b32 s10, s10, 0xffffff00
	s_cmp_eq_u32 s7, 1
	s_mov_b32 s7, 0
	s_cbranch_scc1 .LBB27_6
; %bb.1:
	v_mov_b32_e32 v2, 0
	v_mov_b32_e32 v3, 0
	s_and_b32 vcc_lo, exec_lo, s12
	s_cbranch_vccnz .LBB27_7
; %bb.2:
	v_mad_u64_u32 v[2:3], null, s2, v0, 0
	s_lshl_b64 s[12:13], s[6:7], 1
	s_mov_b64 s[14:15], 0
	s_add_u32 s12, s0, s12
	s_addc_u32 s13, s1, s13
	v_mad_u64_u32 v[3:4], null, s3, v0, v[3:4]
	v_lshlrev_b64 v[4:5], 1, v[2:3]
	v_mov_b32_e32 v2, 0
	v_mov_b32_e32 v3, 0
	v_add_co_u32 v4, vcc_lo, s12, v4
	v_add_co_ci_u32_e64 v5, null, s13, v5, vcc_lo
	s_lshl_b64 s[12:13], s[2:3], 9
	s_inst_prefetch 0x1
	s_branch .LBB27_4
	.p2align	6
.LBB27_3:                               ;   in Loop: Header=BB27_4 Depth=1
	s_or_b32 exec_lo, exec_lo, s16
	s_add_u32 s14, s14, 0x100
	s_addc_u32 s15, s15, 0
	v_add_co_u32 v4, vcc_lo, v4, s12
	v_cmp_ge_i64_e64 s16, s[14:15], s[10:11]
	v_add_co_ci_u32_e64 v5, null, s13, v5, vcc_lo
	s_and_b32 vcc_lo, exec_lo, s16
	s_cbranch_vccnz .LBB27_7
.LBB27_4:                               ; =>This Inner Loop Header: Depth=1
	v_add_co_u32 v6, s16, v0, s14
	v_add_co_ci_u32_e64 v7, null, 0, s15, s16
	s_mov_b32 s16, exec_lo
	v_cmpx_gt_i64_e64 s[8:9], v[6:7]
	s_cbranch_execz .LBB27_3
; %bb.5:                                ;   in Loop: Header=BB27_4 Depth=1
	global_load_ushort v6, v[4:5], off
	s_waitcnt vmcnt(0)
	v_cmp_neq_f16_e32 vcc_lo, 0, v6
	v_cndmask_b32_e64 v6, 0, 1, vcc_lo
	v_add_co_u32 v2, vcc_lo, v2, v6
	v_add_co_ci_u32_e64 v3, null, 0, v3, vcc_lo
	s_branch .LBB27_3
.LBB27_6:
                                        ; implicit-def: $vgpr2_vgpr3
	s_load_dwordx2 s[4:5], s[4:5], 0x28
	s_cbranch_execnz .LBB27_10
	s_branch .LBB27_16
.LBB27_7:
	s_inst_prefetch 0x2
	v_add_co_u32 v4, s12, s10, v0
	v_add_co_ci_u32_e64 v5, null, s11, 0, s12
	s_mov_b32 s12, exec_lo
	v_cmpx_gt_i64_e64 s[8:9], v[4:5]
	s_cbranch_execz .LBB27_9
; %bb.8:
	v_mul_lo_u32 v6, v5, s2
	v_mul_lo_u32 v7, v4, s3
	v_mad_u64_u32 v[4:5], null, v4, s2, 0
	s_lshl_b64 s[14:15], s[6:7], 1
	v_add3_u32 v5, v5, v7, v6
	v_lshlrev_b64 v[4:5], 1, v[4:5]
	v_add_co_u32 v4, vcc_lo, s0, v4
	v_add_co_ci_u32_e64 v5, null, s1, v5, vcc_lo
	v_add_co_u32 v4, vcc_lo, v4, s14
	v_add_co_ci_u32_e64 v5, null, s15, v5, vcc_lo
	global_load_ushort v4, v[4:5], off
	s_waitcnt vmcnt(0)
	v_cmp_neq_f16_e32 vcc_lo, 0, v4
	v_cndmask_b32_e64 v4, 0, 1, vcc_lo
	v_add_co_u32 v2, vcc_lo, v2, v4
	v_add_co_ci_u32_e64 v3, null, 0, v3, vcc_lo
.LBB27_9:
	s_or_b32 exec_lo, exec_lo, s12
	s_load_dwordx2 s[4:5], s[4:5], 0x28
	s_branch .LBB27_16
.LBB27_10:
	v_cmp_gt_i64_e32 vcc_lo, s[8:9], v[0:1]
	s_mul_i32 s3, s3, s6
	s_mul_hi_u32 s12, s2, s6
	s_mul_i32 s2, s2, s6
	s_add_i32 s3, s12, s3
	v_mov_b32_e32 v2, 0
	v_cndmask_b32_e32 v1, 0, v0, vcc_lo
	s_lshl_b64 s[2:3], s[2:3], 1
	v_mov_b32_e32 v3, 0
	s_add_u32 s0, s0, s2
	v_cmp_gt_i64_e64 s2, 0x100, s[8:9]
	v_lshlrev_b32_e32 v1, 1, v1
	s_addc_u32 s1, s1, s3
	s_and_b32 vcc_lo, exec_lo, s2
	v_add_co_u32 v4, s0, s0, v1
	v_add_co_ci_u32_e64 v5, null, s1, 0, s0
	s_cbranch_vccnz .LBB27_13
; %bb.11:
	v_mov_b32_e32 v2, 0
	v_mov_b32_e32 v7, v5
	;; [unrolled: 1-line block ×4, first 2 shown]
	s_mov_b64 s[2:3], 0
	.p2align	6
.LBB27_12:                              ; =>This Inner Loop Header: Depth=1
	global_load_ushort v1, v[6:7], off
	v_add_co_u32 v6, vcc_lo, 0x200, v6
	v_add_co_ci_u32_e64 v7, null, 0, v7, vcc_lo
	s_add_u32 s2, s2, 0x100
	s_addc_u32 s3, s3, 0
	v_cmp_ge_i64_e64 s0, s[2:3], s[10:11]
	s_waitcnt vmcnt(0)
	v_cmp_neq_f16_e32 vcc_lo, 0, v1
	v_cndmask_b32_e64 v1, 0, 1, vcc_lo
	s_and_b32 vcc_lo, exec_lo, s0
	v_add_co_u32 v2, s0, v2, v1
	v_add_co_ci_u32_e64 v3, null, 0, v3, s0
	s_cbranch_vccz .LBB27_12
.LBB27_13:
	v_add_co_u32 v6, s0, s10, v0
	v_add_co_ci_u32_e64 v7, null, s11, 0, s0
	s_mov_b32 s0, exec_lo
	v_cmpx_gt_i64_e64 s[8:9], v[6:7]
	s_cbranch_execz .LBB27_15
; %bb.14:
	s_lshl_b64 s[2:3], s[10:11], 1
	v_add_co_u32 v4, vcc_lo, v4, s2
	v_add_co_ci_u32_e64 v5, null, s3, v5, vcc_lo
	global_load_ushort v1, v[4:5], off
	s_waitcnt vmcnt(0)
	v_cmp_neq_f16_e32 vcc_lo, 0, v1
	v_cndmask_b32_e64 v1, 0, 1, vcc_lo
	v_add_co_u32 v2, vcc_lo, v2, v1
	v_add_co_ci_u32_e64 v3, null, 0, v3, vcc_lo
.LBB27_15:
	s_or_b32 exec_lo, exec_lo, s0
.LBB27_16:
	v_cmp_gt_i64_e64 s0, 0x100, s[8:9]
	v_lshlrev_b32_e32 v4, 3, v0
	s_mov_b32 s1, -1
	ds_write_b64 v4, v[2:3]
	s_and_b32 vcc_lo, exec_lo, s0
	v_cmp_eq_u32_e64 s0, 0, v0
	s_waitcnt lgkmcnt(0)
	s_cbranch_vccz .LBB27_26
; %bb.17:
	v_cmp_gt_i64_e64 s1, s[8:9], 1
	s_mov_b64 s[2:3], 1
	s_barrier
	buffer_gl0_inv
	s_and_b32 s0, s0, s1
	s_and_saveexec_b32 s3, s0
	s_cbranch_execz .LBB27_25
; %bb.18:
	v_mov_b32_e32 v1, 0
	s_add_u32 s10, s8, -1
	s_addc_u32 s1, s9, -1
	s_add_u32 s8, s8, -2
	s_addc_u32 s9, s9, -1
	ds_read_b64 v[1:2], v1
	v_cmp_lt_u64_e64 s0, s[8:9], 7
	s_and_b32 vcc_lo, exec_lo, s0
	s_cbranch_vccnz .LBB27_21
; %bb.19:
	s_and_b32 s0, s10, -8
	s_mov_b64 s[8:9], 0
	s_mov_b32 s11, 8
	s_inst_prefetch 0x1
	.p2align	6
.LBB27_20:                              ; =>This Inner Loop Header: Depth=1
	v_mov_b32_e32 v3, s11
	s_add_u32 s12, s8, 8
	s_addc_u32 s13, s9, 0
	s_add_i32 s11, s11, 64
	s_add_u32 s2, s8, 9
	ds_read2_b64 v[5:8], v3 offset1:1
	ds_read2_b64 v[9:12], v3 offset0:2 offset1:3
	ds_read2_b64 v[13:16], v3 offset0:4 offset1:5
	s_cmp_lg_u64 s[0:1], s[12:13]
	s_mov_b64 s[8:9], s[12:13]
	s_waitcnt lgkmcnt(2)
	v_add_co_u32 v1, vcc_lo, v1, v5
	v_add_co_ci_u32_e64 v2, null, v2, v6, vcc_lo
	v_add_co_u32 v1, vcc_lo, v1, v7
	v_add_co_ci_u32_e64 v2, null, v2, v8, vcc_lo
	ds_read2_b64 v[5:8], v3 offset0:6 offset1:7
	s_waitcnt lgkmcnt(2)
	v_add_co_u32 v1, vcc_lo, v1, v9
	v_add_co_ci_u32_e64 v2, null, v2, v10, vcc_lo
	v_add_co_u32 v1, vcc_lo, v1, v11
	v_add_co_ci_u32_e64 v2, null, v2, v12, vcc_lo
	s_waitcnt lgkmcnt(1)
	v_add_co_u32 v1, vcc_lo, v1, v13
	v_add_co_ci_u32_e64 v2, null, v2, v14, vcc_lo
	v_add_co_u32 v1, vcc_lo, v1, v15
	v_add_co_ci_u32_e64 v2, null, v2, v16, vcc_lo
	s_waitcnt lgkmcnt(0)
	v_add_co_u32 v1, vcc_lo, v1, v5
	v_add_co_ci_u32_e64 v2, null, v2, v6, vcc_lo
	v_add_co_u32 v1, vcc_lo, v1, v7
	v_add_co_ci_u32_e64 v2, null, v2, v8, vcc_lo
	s_cbranch_scc1 .LBB27_20
.LBB27_21:
	s_inst_prefetch 0x2
	s_and_b32 s0, s10, 7
	s_mov_b32 s1, 0
	s_cmp_eq_u64 s[0:1], 0
	s_cbranch_scc1 .LBB27_24
; %bb.22:
	s_lshl_b32 s2, s2, 3
.LBB27_23:                              ; =>This Inner Loop Header: Depth=1
	v_mov_b32_e32 v3, s2
	s_add_i32 s2, s2, 8
	s_add_u32 s0, s0, -1
	s_addc_u32 s1, s1, -1
	s_cmp_lg_u64 s[0:1], 0
	ds_read_b64 v[5:6], v3
	s_waitcnt lgkmcnt(0)
	v_add_co_u32 v1, vcc_lo, v1, v5
	v_add_co_ci_u32_e64 v2, null, v2, v6, vcc_lo
	s_cbranch_scc1 .LBB27_23
.LBB27_24:
	v_mov_b32_e32 v3, 0
	s_waitcnt lgkmcnt(0)
	ds_write_b64 v3, v[1:2]
.LBB27_25:
	s_or_b32 exec_lo, exec_lo, s3
	s_mov_b32 s1, 0
	s_waitcnt lgkmcnt(0)
	s_barrier
.LBB27_26:
	s_and_b32 vcc_lo, exec_lo, s1
	s_cbranch_vccz .LBB27_44
; %bb.27:
	s_mov_b32 s0, exec_lo
	s_barrier
	buffer_gl0_inv
	v_cmpx_gt_u32_e32 0x80, v0
	s_cbranch_execz .LBB27_29
; %bb.28:
	ds_read2st64_b64 v[5:8], v4 offset1:2
	s_waitcnt lgkmcnt(0)
	v_add_co_u32 v1, vcc_lo, v5, v7
	v_add_co_ci_u32_e64 v2, null, v6, v8, vcc_lo
	ds_write_b64 v4, v[1:2]
.LBB27_29:
	s_or_b32 exec_lo, exec_lo, s0
	s_mov_b32 s0, exec_lo
	s_waitcnt lgkmcnt(0)
	s_barrier
	buffer_gl0_inv
	v_cmpx_gt_u32_e32 64, v0
	s_cbranch_execz .LBB27_31
; %bb.30:
	ds_read2st64_b64 v[5:8], v4 offset1:1
	s_waitcnt lgkmcnt(0)
	v_add_co_u32 v1, vcc_lo, v5, v7
	v_add_co_ci_u32_e64 v2, null, v6, v8, vcc_lo
	ds_write_b64 v4, v[1:2]
.LBB27_31:
	s_or_b32 exec_lo, exec_lo, s0
	s_mov_b32 s0, exec_lo
	s_waitcnt lgkmcnt(0)
	s_barrier
	buffer_gl0_inv
	v_cmpx_gt_u32_e32 32, v0
	s_cbranch_execz .LBB27_33
; %bb.32:
	ds_read2_b64 v[5:8], v4 offset1:32
	s_waitcnt lgkmcnt(0)
	v_add_co_u32 v1, vcc_lo, v5, v7
	v_add_co_ci_u32_e64 v2, null, v6, v8, vcc_lo
	ds_write_b64 v4, v[1:2]
.LBB27_33:
	s_or_b32 exec_lo, exec_lo, s0
	s_mov_b32 s0, exec_lo
	s_waitcnt lgkmcnt(0)
	s_barrier
	buffer_gl0_inv
	v_cmpx_gt_u32_e32 16, v0
	s_cbranch_execz .LBB27_35
; %bb.34:
	ds_read2_b64 v[5:8], v4 offset1:16
	s_waitcnt lgkmcnt(0)
	v_add_co_u32 v1, vcc_lo, v5, v7
	v_add_co_ci_u32_e64 v2, null, v6, v8, vcc_lo
	ds_write_b64 v4, v[1:2]
.LBB27_35:
	;; [unrolled: 14-line block ×5, first 2 shown]
	s_or_b32 exec_lo, exec_lo, s0
	s_mov_b32 s0, exec_lo
	s_waitcnt lgkmcnt(0)
	s_barrier
	buffer_gl0_inv
	v_cmpx_eq_u32_e32 0, v0
	s_cbranch_execz .LBB27_43
; %bb.42:
	v_mov_b32_e32 v5, 0
	ds_read_b128 v[1:4], v5
	s_waitcnt lgkmcnt(0)
	v_add_co_u32 v1, vcc_lo, v1, v3
	v_add_co_ci_u32_e64 v2, null, v2, v4, vcc_lo
	ds_write_b64 v5, v[1:2]
.LBB27_43:
	s_or_b32 exec_lo, exec_lo, s0
	s_waitcnt lgkmcnt(0)
	s_barrier
.LBB27_44:
	buffer_gl0_inv
	s_mov_b32 s0, exec_lo
	v_cmpx_eq_u32_e32 0, v0
	s_cbranch_execz .LBB27_46
; %bb.45:
	v_mov_b32_e32 v2, 0
	s_lshl_b64 s[0:1], s[6:7], 3
	s_add_u32 s0, s4, s0
	s_addc_u32 s1, s5, s1
	ds_read_b64 v[0:1], v2
	s_waitcnt lgkmcnt(0)
	global_store_dwordx2 v2, v[0:1], s[0:1]
.LBB27_46:
	s_endpgm
	.section	.rodata,"a",@progbits
	.p2align	6, 0x0
	.amdhsa_kernel _ZN9rocsparseL14nnz_kernel_colILi256EllDF16_EEv16rocsparse_order_T1_S2_PKT2_lPT0_
		.amdhsa_group_segment_fixed_size 2048
		.amdhsa_private_segment_fixed_size 0
		.amdhsa_kernarg_size 48
		.amdhsa_user_sgpr_count 6
		.amdhsa_user_sgpr_private_segment_buffer 1
		.amdhsa_user_sgpr_dispatch_ptr 0
		.amdhsa_user_sgpr_queue_ptr 0
		.amdhsa_user_sgpr_kernarg_segment_ptr 1
		.amdhsa_user_sgpr_dispatch_id 0
		.amdhsa_user_sgpr_flat_scratch_init 0
		.amdhsa_user_sgpr_private_segment_size 0
		.amdhsa_wavefront_size32 1
		.amdhsa_uses_dynamic_stack 0
		.amdhsa_system_sgpr_private_segment_wavefront_offset 0
		.amdhsa_system_sgpr_workgroup_id_x 1
		.amdhsa_system_sgpr_workgroup_id_y 0
		.amdhsa_system_sgpr_workgroup_id_z 0
		.amdhsa_system_sgpr_workgroup_info 0
		.amdhsa_system_vgpr_workitem_id 0
		.amdhsa_next_free_vgpr 17
		.amdhsa_next_free_sgpr 17
		.amdhsa_reserve_vcc 1
		.amdhsa_reserve_flat_scratch 0
		.amdhsa_float_round_mode_32 0
		.amdhsa_float_round_mode_16_64 0
		.amdhsa_float_denorm_mode_32 3
		.amdhsa_float_denorm_mode_16_64 3
		.amdhsa_dx10_clamp 1
		.amdhsa_ieee_mode 1
		.amdhsa_fp16_overflow 0
		.amdhsa_workgroup_processor_mode 1
		.amdhsa_memory_ordered 1
		.amdhsa_forward_progress 1
		.amdhsa_shared_vgpr_count 0
		.amdhsa_exception_fp_ieee_invalid_op 0
		.amdhsa_exception_fp_denorm_src 0
		.amdhsa_exception_fp_ieee_div_zero 0
		.amdhsa_exception_fp_ieee_overflow 0
		.amdhsa_exception_fp_ieee_underflow 0
		.amdhsa_exception_fp_ieee_inexact 0
		.amdhsa_exception_int_div_zero 0
	.end_amdhsa_kernel
	.section	.text._ZN9rocsparseL14nnz_kernel_colILi256EllDF16_EEv16rocsparse_order_T1_S2_PKT2_lPT0_,"axG",@progbits,_ZN9rocsparseL14nnz_kernel_colILi256EllDF16_EEv16rocsparse_order_T1_S2_PKT2_lPT0_,comdat
.Lfunc_end27:
	.size	_ZN9rocsparseL14nnz_kernel_colILi256EllDF16_EEv16rocsparse_order_T1_S2_PKT2_lPT0_, .Lfunc_end27-_ZN9rocsparseL14nnz_kernel_colILi256EllDF16_EEv16rocsparse_order_T1_S2_PKT2_lPT0_
                                        ; -- End function
	.set _ZN9rocsparseL14nnz_kernel_colILi256EllDF16_EEv16rocsparse_order_T1_S2_PKT2_lPT0_.num_vgpr, 17
	.set _ZN9rocsparseL14nnz_kernel_colILi256EllDF16_EEv16rocsparse_order_T1_S2_PKT2_lPT0_.num_agpr, 0
	.set _ZN9rocsparseL14nnz_kernel_colILi256EllDF16_EEv16rocsparse_order_T1_S2_PKT2_lPT0_.numbered_sgpr, 17
	.set _ZN9rocsparseL14nnz_kernel_colILi256EllDF16_EEv16rocsparse_order_T1_S2_PKT2_lPT0_.num_named_barrier, 0
	.set _ZN9rocsparseL14nnz_kernel_colILi256EllDF16_EEv16rocsparse_order_T1_S2_PKT2_lPT0_.private_seg_size, 0
	.set _ZN9rocsparseL14nnz_kernel_colILi256EllDF16_EEv16rocsparse_order_T1_S2_PKT2_lPT0_.uses_vcc, 1
	.set _ZN9rocsparseL14nnz_kernel_colILi256EllDF16_EEv16rocsparse_order_T1_S2_PKT2_lPT0_.uses_flat_scratch, 0
	.set _ZN9rocsparseL14nnz_kernel_colILi256EllDF16_EEv16rocsparse_order_T1_S2_PKT2_lPT0_.has_dyn_sized_stack, 0
	.set _ZN9rocsparseL14nnz_kernel_colILi256EllDF16_EEv16rocsparse_order_T1_S2_PKT2_lPT0_.has_recursion, 0
	.set _ZN9rocsparseL14nnz_kernel_colILi256EllDF16_EEv16rocsparse_order_T1_S2_PKT2_lPT0_.has_indirect_call, 0
	.section	.AMDGPU.csdata,"",@progbits
; Kernel info:
; codeLenInByte = 1964
; TotalNumSgprs: 19
; NumVgprs: 17
; ScratchSize: 0
; MemoryBound: 0
; FloatMode: 240
; IeeeMode: 1
; LDSByteSize: 2048 bytes/workgroup (compile time only)
; SGPRBlocks: 0
; VGPRBlocks: 2
; NumSGPRsForWavesPerEU: 19
; NumVGPRsForWavesPerEU: 17
; Occupancy: 16
; WaveLimiterHint : 0
; COMPUTE_PGM_RSRC2:SCRATCH_EN: 0
; COMPUTE_PGM_RSRC2:USER_SGPR: 6
; COMPUTE_PGM_RSRC2:TRAP_HANDLER: 0
; COMPUTE_PGM_RSRC2:TGID_X_EN: 1
; COMPUTE_PGM_RSRC2:TGID_Y_EN: 0
; COMPUTE_PGM_RSRC2:TGID_Z_EN: 0
; COMPUTE_PGM_RSRC2:TIDIG_COMP_CNT: 0
	.section	.text._ZN9rocsparseL14nnz_kernel_rowILi64ELi16EllfEEv16rocsparse_order_T2_S2_PKT3_lPT1_,"axG",@progbits,_ZN9rocsparseL14nnz_kernel_rowILi64ELi16EllfEEv16rocsparse_order_T2_S2_PKT3_lPT1_,comdat
	.globl	_ZN9rocsparseL14nnz_kernel_rowILi64ELi16EllfEEv16rocsparse_order_T2_S2_PKT3_lPT1_ ; -- Begin function _ZN9rocsparseL14nnz_kernel_rowILi64ELi16EllfEEv16rocsparse_order_T2_S2_PKT3_lPT1_
	.p2align	8
	.type	_ZN9rocsparseL14nnz_kernel_rowILi64ELi16EllfEEv16rocsparse_order_T2_S2_PKT3_lPT1_,@function
_ZN9rocsparseL14nnz_kernel_rowILi64ELi16EllfEEv16rocsparse_order_T2_S2_PKT3_lPT1_: ; @_ZN9rocsparseL14nnz_kernel_rowILi64ELi16EllfEEv16rocsparse_order_T2_S2_PKT3_lPT1_
; %bb.0:
	s_clause 0x3
	s_load_dword s0, s[4:5], 0x3c
	s_load_dwordx8 s[8:15], s[4:5], 0x8
	s_load_dwordx2 s[16:17], s[4:5], 0x28
	s_load_dword s22, s[4:5], 0x0
	s_lshl_b32 s5, s6, 8
	v_mov_b32_e32 v21, 0
	s_mov_b32 s24, 0
	s_mov_b32 s23, exec_lo
	v_mov_b32_e32 v19, v21
	v_mov_b32_e32 v2, v21
	;; [unrolled: 1-line block ×9, first 2 shown]
	s_waitcnt lgkmcnt(0)
	s_and_b32 s0, s0, 0xffff
	v_mad_u32_u24 v32, v1, s0, v0
	s_ashr_i32 s0, s11, 31
	s_lshr_b32 s0, s0, 26
	s_add_u32 s0, s10, s0
	v_and_b32_e32 v33, 63, v32
	v_lshrrev_b32_e32 v0, 4, v32
	s_addc_u32 s19, s11, 0
	s_and_b32 s18, s0, 0xffffffc0
	v_or_b32_e32 v20, s5, v33
	v_and_b32_e32 v18, 0x7ffffc, v0
	s_sub_u32 s6, s10, s18
	s_subb_u32 s7, s11, s19
	v_or_b32_e32 v24, 64, v20
	v_or_b32_e32 v22, 0x80, v20
	;; [unrolled: 1-line block ×3, first 2 shown]
	v_cmpx_gt_i64_e64 s[18:19], v[18:19]
	s_cbranch_execz .LBB28_28
; %bb.1:
	v_add_co_u32 v2, s0, s5, v33
	v_add_co_ci_u32_e64 v3, null, 0, 0, s0
	v_mov_b32_e32 v1, v21
	v_mul_lo_u32 v6, s15, v2
	v_mad_u64_u32 v[4:5], null, s14, v2, 0
	v_mul_lo_u32 v7, s14, v3
	v_add_co_u32 v8, vcc_lo, v2, 64
	v_add_co_ci_u32_e64 v9, null, 0, v3, vcc_lo
	v_lshrrev_b32_e32 v14, 6, v32
	v_cmp_gt_i64_e64 s3, s[8:9], v[0:1]
	v_mul_lo_u32 v1, s15, v8
	v_add3_u32 v5, v5, v7, v6
	v_mul_lo_u32 v9, s14, v9
	v_mad_u64_u32 v[6:7], null, s14, v8, 0
	v_add_co_u32 v8, vcc_lo, 0x80, v2
	v_lshlrev_b64 v[4:5], 2, v[4:5]
	v_mov_b32_e32 v23, v21
	v_lshlrev_b32_e32 v16, 4, v14
	v_add_co_ci_u32_e64 v10, null, 0, v3, vcc_lo
	v_add3_u32 v7, v7, v9, v1
	v_cmp_gt_i64_e64 s2, s[8:9], v[22:23]
	v_add_co_u32 v23, vcc_lo, v4, v16
	v_mul_lo_u32 v1, s15, v8
	v_mul_lo_u32 v10, s14, v10
	v_mad_u64_u32 v[8:9], null, s14, v8, 0
	v_add_co_ci_u32_e64 v29, null, 0, v5, vcc_lo
	v_add_co_u32 v11, vcc_lo, 0xc0, v2
	v_mov_b32_e32 v25, v21
	v_add_co_ci_u32_e64 v12, null, 0, v3, vcc_lo
	v_add3_u32 v9, v9, v10, v1
	v_mul_lo_u32 v15, s15, v11
	v_cmp_gt_i64_e64 s1, s[8:9], v[24:25]
	v_mul_lo_u32 v25, s14, v12
	v_mad_u64_u32 v[10:11], null, s14, v11, 0
	v_lshlrev_b64 v[4:5], 2, v[6:7]
	v_mad_u64_u32 v[12:13], null, s14, v14, 0
	v_lshlrev_b64 v[6:7], 2, v[2:3]
	v_or_b32_e32 v17, 12, v16
	v_or_b32_e32 v36, 4, v16
	v_add_co_u32 v30, vcc_lo, v4, v16
	v_lshlrev_b64 v[3:4], 2, v[8:9]
	v_add3_u32 v11, v11, v25, v15
	v_or_b32_e32 v15, 8, v16
	v_add_co_ci_u32_e64 v31, null, 0, v5, vcc_lo
	v_mov_b32_e32 v5, v13
	v_mad_u64_u32 v[1:2], null, s14, v17, v[6:7]
	v_mad_u64_u32 v[25:26], null, s14, v15, v[6:7]
	;; [unrolled: 1-line block ×4, first 2 shown]
	v_add_co_u32 v34, vcc_lo, v3, v16
	v_add_co_ci_u32_e64 v35, null, 0, v4, vcc_lo
	v_lshlrev_b64 v[3:4], 2, v[10:11]
	v_mov_b32_e32 v5, v26
	v_mov_b32_e32 v13, v8
	v_cmp_gt_i64_e64 s0, s[8:9], v[20:21]
	v_mov_b32_e32 v8, v21
	s_cmp_lg_u32 s22, 1
	v_mad_u64_u32 v[9:10], null, s15, v17, v[2:3]
	v_mov_b32_e32 v2, v28
	v_mad_u64_u32 v[10:11], null, s15, v15, v[5:6]
	v_lshlrev_b64 v[11:12], 4, v[12:13]
	v_add_co_u32 v26, vcc_lo, v3, v16
	v_mad_u64_u32 v[14:15], null, s15, v36, v[2:3]
	v_add_co_ci_u32_e64 v28, null, 0, v4, vcc_lo
	v_add_co_u32 v39, vcc_lo, v11, v6
	v_mov_b32_e32 v36, v9
	v_mov_b32_e32 v37, v10
	;; [unrolled: 1-line block ×3, first 2 shown]
	v_add_co_ci_u32_e64 v40, null, v12, v7, vcc_lo
	v_mov_b32_e32 v2, v21
	v_mov_b32_e32 v3, v21
	;; [unrolled: 1-line block ×7, first 2 shown]
	s_cselect_b32 s25, -1, 0
	s_lshl_b64 s[20:21], s[14:15], 8
	s_branch .LBB28_4
.LBB28_2:                               ;   in Loop: Header=BB28_4 Depth=1
	v_mov_b32_e32 v2, v10
	v_mov_b32_e32 v3, v11
	;; [unrolled: 1-line block ×8, first 2 shown]
.LBB28_3:                               ;   in Loop: Header=BB28_4 Depth=1
	s_or_b32 exec_lo, exec_lo, s4
	v_add_co_u32 v18, vcc_lo, v18, 64
	v_add_co_ci_u32_e64 v19, null, 0, v19, vcc_lo
	v_add_co_u32 v23, vcc_lo, 0x100, v23
	v_add_co_ci_u32_e64 v29, null, 0, v29, vcc_lo
	;; [unrolled: 2-line block ×8, first 2 shown]
	v_cmp_le_i64_e32 vcc_lo, s[18:19], v[18:19]
	v_add_co_u32 v39, s4, v39, s20
	v_add_co_ci_u32_e64 v40, null, s21, v40, s4
	s_or_b32 s24, vcc_lo, s24
	s_andn2_b32 exec_lo, exec_lo, s24
	s_cbranch_execz .LBB28_27
.LBB28_4:                               ; =>This Inner Loop Header: Depth=1
	s_and_saveexec_b32 s4, s0
	s_cbranch_execnz .LBB28_8
; %bb.5:                                ;   in Loop: Header=BB28_4 Depth=1
	s_or_b32 exec_lo, exec_lo, s4
	s_and_saveexec_b32 s4, s1
	s_cbranch_execnz .LBB28_13
.LBB28_6:                               ;   in Loop: Header=BB28_4 Depth=1
	s_or_b32 exec_lo, exec_lo, s4
	s_and_saveexec_b32 s4, s2
	s_cbranch_execnz .LBB28_18
.LBB28_7:                               ;   in Loop: Header=BB28_4 Depth=1
	s_or_b32 exec_lo, exec_lo, s4
	s_and_saveexec_b32 s4, s3
	s_cbranch_execz .LBB28_3
	s_branch .LBB28_23
.LBB28_8:                               ;   in Loop: Header=BB28_4 Depth=1
	s_andn2_b32 vcc_lo, exec_lo, s25
	s_mov_b32 s26, -1
                                        ; implicit-def: $vgpr10_vgpr11_vgpr12_vgpr13_vgpr14_vgpr15_vgpr16_vgpr17
	s_cbranch_vccnz .LBB28_10
; %bb.9:                                ;   in Loop: Header=BB28_4 Depth=1
	v_add_co_u32 v10, vcc_lo, s12, v23
	v_add_co_ci_u32_e64 v11, null, s13, v29, vcc_lo
	s_mov_b32 s26, 0
	global_load_dwordx4 v[11:14], v[10:11], off
	v_add_co_u32 v10, vcc_lo, v2, 1
	v_add_co_ci_u32_e64 v15, null, 0, v3, vcc_lo
	s_waitcnt vmcnt(0)
	v_cmp_neq_f32_e32 vcc_lo, 0, v11
	v_cndmask_b32_e32 v10, v2, v10, vcc_lo
	v_cndmask_b32_e32 v11, v3, v15, vcc_lo
	v_add_co_u32 v15, vcc_lo, v10, 1
	v_add_co_ci_u32_e64 v16, null, 0, v11, vcc_lo
	v_cmp_neq_f32_e32 vcc_lo, 0, v12
	v_cndmask_b32_e32 v10, v10, v15, vcc_lo
	v_cndmask_b32_e32 v11, v11, v16, vcc_lo
	v_mov_b32_e32 v16, v8
	v_add_co_u32 v12, vcc_lo, v10, 1
	v_add_co_ci_u32_e64 v15, null, 0, v11, vcc_lo
	v_cmp_neq_f32_e32 vcc_lo, 0, v13
	v_mov_b32_e32 v13, v5
	v_cndmask_b32_e32 v10, v10, v12, vcc_lo
	v_cndmask_b32_e32 v11, v11, v15, vcc_lo
	v_mov_b32_e32 v12, v4
	v_mov_b32_e32 v15, v7
	v_add_co_u32 v17, vcc_lo, v10, 1
	v_add_co_ci_u32_e64 v41, null, 0, v11, vcc_lo
	v_cmp_neq_f32_e32 vcc_lo, 0, v14
	v_mov_b32_e32 v14, v6
	v_cndmask_b32_e32 v11, v11, v41, vcc_lo
	v_cndmask_b32_e32 v10, v10, v17, vcc_lo
	v_mov_b32_e32 v17, v9
.LBB28_10:                              ;   in Loop: Header=BB28_4 Depth=1
	s_andn2_b32 vcc_lo, exec_lo, s26
	s_cbranch_vccnz .LBB28_12
; %bb.11:                               ;   in Loop: Header=BB28_4 Depth=1
	v_add_co_u32 v10, vcc_lo, s12, v39
	v_add_co_ci_u32_e64 v11, null, s13, v40, vcc_lo
	global_load_dword v12, v[10:11], off
	v_add_co_u32 v10, vcc_lo, s12, v27
	v_add_co_ci_u32_e64 v11, null, s13, v38, vcc_lo
	global_load_dword v13, v[10:11], off
	v_add_co_u32 v10, vcc_lo, s12, v25
	v_add_co_ci_u32_e64 v11, null, s13, v37, vcc_lo
	global_load_dword v14, v[10:11], off
	v_add_co_u32 v10, vcc_lo, s12, v1
	v_add_co_ci_u32_e64 v11, null, s13, v36, vcc_lo
	global_load_dword v10, v[10:11], off
	v_add_co_u32 v11, vcc_lo, v2, 1
	v_add_co_ci_u32_e64 v15, null, 0, v3, vcc_lo
	s_waitcnt vmcnt(3)
	v_cmp_neq_f32_e32 vcc_lo, 0, v12
	v_cndmask_b32_e32 v2, v2, v11, vcc_lo
	v_cndmask_b32_e32 v3, v3, v15, vcc_lo
	v_add_co_u32 v11, vcc_lo, v2, 1
	v_add_co_ci_u32_e64 v12, null, 0, v3, vcc_lo
	s_waitcnt vmcnt(2)
	v_cmp_neq_f32_e32 vcc_lo, 0, v13
	v_cndmask_b32_e32 v2, v2, v11, vcc_lo
	v_cndmask_b32_e32 v3, v3, v12, vcc_lo
	;; [unrolled: 6-line block ×4, first 2 shown]
	v_mov_b32_e32 v17, v9
	v_mov_b32_e32 v16, v8
	;; [unrolled: 1-line block ×8, first 2 shown]
.LBB28_12:                              ;   in Loop: Header=BB28_4 Depth=1
	v_mov_b32_e32 v2, v10
	v_mov_b32_e32 v3, v11
	;; [unrolled: 1-line block ×8, first 2 shown]
	s_or_b32 exec_lo, exec_lo, s4
	s_and_saveexec_b32 s4, s1
	s_cbranch_execz .LBB28_6
.LBB28_13:                              ;   in Loop: Header=BB28_4 Depth=1
	s_andn2_b32 vcc_lo, exec_lo, s25
	s_mov_b32 s26, -1
                                        ; implicit-def: $vgpr10_vgpr11_vgpr12_vgpr13_vgpr14_vgpr15_vgpr16_vgpr17
	s_cbranch_vccnz .LBB28_15
; %bb.14:                               ;   in Loop: Header=BB28_4 Depth=1
	v_add_co_u32 v10, vcc_lo, s12, v30
	v_add_co_ci_u32_e64 v11, null, s13, v31, vcc_lo
	v_add_co_u32 v14, vcc_lo, v4, 1
	v_add_co_ci_u32_e64 v15, null, 0, v5, vcc_lo
	global_load_dwordx4 v[10:13], v[10:11], off
	s_mov_b32 s26, 0
	s_waitcnt vmcnt(0)
	v_cmp_neq_f32_e32 vcc_lo, 0, v10
	v_cndmask_b32_e32 v14, v4, v14, vcc_lo
	v_cndmask_b32_e32 v10, v5, v15, vcc_lo
	v_add_co_u32 v15, vcc_lo, v14, 1
	v_add_co_ci_u32_e64 v16, null, 0, v10, vcc_lo
	v_cmp_neq_f32_e32 vcc_lo, 0, v11
	v_cndmask_b32_e32 v11, v14, v15, vcc_lo
	v_cndmask_b32_e32 v10, v10, v16, vcc_lo
	v_mov_b32_e32 v16, v8
	v_add_co_u32 v14, vcc_lo, v11, 1
	v_add_co_ci_u32_e64 v15, null, 0, v10, vcc_lo
	v_cmp_neq_f32_e32 vcc_lo, 0, v12
	v_cndmask_b32_e32 v17, v11, v14, vcc_lo
	v_cndmask_b32_e32 v12, v10, v15, vcc_lo
	v_mov_b32_e32 v10, v2
	v_mov_b32_e32 v11, v3
	;; [unrolled: 1-line block ×3, first 2 shown]
	v_add_co_u32 v41, vcc_lo, v17, 1
	v_add_co_ci_u32_e64 v42, null, 0, v12, vcc_lo
	v_cmp_neq_f32_e32 vcc_lo, 0, v13
	v_mov_b32_e32 v15, v7
	v_cndmask_b32_e32 v13, v12, v42, vcc_lo
	v_cndmask_b32_e32 v12, v17, v41, vcc_lo
	v_mov_b32_e32 v17, v9
.LBB28_15:                              ;   in Loop: Header=BB28_4 Depth=1
	s_andn2_b32 vcc_lo, exec_lo, s26
	s_cbranch_vccnz .LBB28_17
; %bb.16:                               ;   in Loop: Header=BB28_4 Depth=1
	v_add_co_u32 v10, vcc_lo, s12, v39
	v_add_co_ci_u32_e64 v11, null, s13, v40, vcc_lo
	global_load_dword v12, v[10:11], off offset:256
	v_add_co_u32 v10, vcc_lo, s12, v27
	v_add_co_ci_u32_e64 v11, null, s13, v38, vcc_lo
	global_load_dword v13, v[10:11], off offset:256
	;; [unrolled: 3-line block ×4, first 2 shown]
	v_add_co_u32 v11, vcc_lo, v4, 1
	v_add_co_ci_u32_e64 v15, null, 0, v5, vcc_lo
	s_waitcnt vmcnt(3)
	v_cmp_neq_f32_e32 vcc_lo, 0, v12
	v_cndmask_b32_e32 v4, v4, v11, vcc_lo
	v_cndmask_b32_e32 v5, v5, v15, vcc_lo
	v_add_co_u32 v11, vcc_lo, v4, 1
	v_add_co_ci_u32_e64 v12, null, 0, v5, vcc_lo
	s_waitcnt vmcnt(2)
	v_cmp_neq_f32_e32 vcc_lo, 0, v13
	v_cndmask_b32_e32 v4, v4, v11, vcc_lo
	v_cndmask_b32_e32 v5, v5, v12, vcc_lo
	;; [unrolled: 6-line block ×4, first 2 shown]
	v_mov_b32_e32 v17, v9
	v_mov_b32_e32 v16, v8
	;; [unrolled: 1-line block ×8, first 2 shown]
.LBB28_17:                              ;   in Loop: Header=BB28_4 Depth=1
	v_mov_b32_e32 v2, v10
	v_mov_b32_e32 v3, v11
	;; [unrolled: 1-line block ×8, first 2 shown]
	s_or_b32 exec_lo, exec_lo, s4
	s_and_saveexec_b32 s4, s2
	s_cbranch_execz .LBB28_7
.LBB28_18:                              ;   in Loop: Header=BB28_4 Depth=1
	s_andn2_b32 vcc_lo, exec_lo, s25
	s_mov_b32 s26, -1
                                        ; implicit-def: $vgpr10_vgpr11_vgpr12_vgpr13_vgpr14_vgpr15_vgpr16_vgpr17
	s_cbranch_vccnz .LBB28_20
; %bb.19:                               ;   in Loop: Header=BB28_4 Depth=1
	v_add_co_u32 v10, vcc_lo, s12, v34
	v_add_co_ci_u32_e64 v11, null, s13, v35, vcc_lo
	v_add_co_u32 v14, vcc_lo, v6, 1
	v_add_co_ci_u32_e64 v15, null, 0, v7, vcc_lo
	global_load_dwordx4 v[10:13], v[10:11], off
	s_mov_b32 s26, 0
	s_waitcnt vmcnt(0)
	v_cmp_neq_f32_e32 vcc_lo, 0, v10
	v_cndmask_b32_e32 v14, v6, v14, vcc_lo
	v_cndmask_b32_e32 v10, v7, v15, vcc_lo
	v_add_co_u32 v15, vcc_lo, v14, 1
	v_add_co_ci_u32_e64 v16, null, 0, v10, vcc_lo
	v_cmp_neq_f32_e32 vcc_lo, 0, v11
	v_cndmask_b32_e32 v11, v14, v15, vcc_lo
	v_cndmask_b32_e32 v10, v10, v16, vcc_lo
	v_mov_b32_e32 v16, v8
	v_add_co_u32 v14, vcc_lo, v11, 1
	v_add_co_ci_u32_e64 v15, null, 0, v10, vcc_lo
	v_cmp_neq_f32_e32 vcc_lo, 0, v12
	v_mov_b32_e32 v12, v4
	v_cndmask_b32_e32 v14, v11, v14, vcc_lo
	v_cndmask_b32_e32 v15, v10, v15, vcc_lo
	v_mov_b32_e32 v10, v2
	v_mov_b32_e32 v11, v3
	v_add_co_u32 v17, vcc_lo, v14, 1
	v_add_co_ci_u32_e64 v41, null, 0, v15, vcc_lo
	v_cmp_neq_f32_e32 vcc_lo, 0, v13
	v_mov_b32_e32 v13, v5
	v_cndmask_b32_e32 v15, v15, v41, vcc_lo
	v_cndmask_b32_e32 v14, v14, v17, vcc_lo
	v_mov_b32_e32 v17, v9
.LBB28_20:                              ;   in Loop: Header=BB28_4 Depth=1
	s_andn2_b32 vcc_lo, exec_lo, s26
	s_cbranch_vccnz .LBB28_22
; %bb.21:                               ;   in Loop: Header=BB28_4 Depth=1
	v_add_co_u32 v10, vcc_lo, s12, v39
	v_add_co_ci_u32_e64 v11, null, s13, v40, vcc_lo
	global_load_dword v12, v[10:11], off offset:512
	v_add_co_u32 v10, vcc_lo, s12, v27
	v_add_co_ci_u32_e64 v11, null, s13, v38, vcc_lo
	global_load_dword v13, v[10:11], off offset:512
	;; [unrolled: 3-line block ×4, first 2 shown]
	v_add_co_u32 v11, vcc_lo, v6, 1
	v_add_co_ci_u32_e64 v15, null, 0, v7, vcc_lo
	s_waitcnt vmcnt(3)
	v_cmp_neq_f32_e32 vcc_lo, 0, v12
	v_cndmask_b32_e32 v6, v6, v11, vcc_lo
	v_cndmask_b32_e32 v7, v7, v15, vcc_lo
	v_add_co_u32 v11, vcc_lo, v6, 1
	v_add_co_ci_u32_e64 v12, null, 0, v7, vcc_lo
	s_waitcnt vmcnt(2)
	v_cmp_neq_f32_e32 vcc_lo, 0, v13
	v_cndmask_b32_e32 v6, v6, v11, vcc_lo
	v_cndmask_b32_e32 v7, v7, v12, vcc_lo
	;; [unrolled: 6-line block ×4, first 2 shown]
	v_mov_b32_e32 v17, v9
	v_mov_b32_e32 v16, v8
	;; [unrolled: 1-line block ×8, first 2 shown]
.LBB28_22:                              ;   in Loop: Header=BB28_4 Depth=1
	v_mov_b32_e32 v2, v10
	v_mov_b32_e32 v3, v11
	v_mov_b32_e32 v4, v12
	v_mov_b32_e32 v5, v13
	v_mov_b32_e32 v6, v14
	v_mov_b32_e32 v7, v15
	v_mov_b32_e32 v8, v16
	v_mov_b32_e32 v9, v17
	s_or_b32 exec_lo, exec_lo, s4
	s_and_saveexec_b32 s4, s3
	s_cbranch_execz .LBB28_3
.LBB28_23:                              ;   in Loop: Header=BB28_4 Depth=1
	s_andn2_b32 vcc_lo, exec_lo, s25
	s_mov_b32 s26, -1
                                        ; implicit-def: $vgpr10_vgpr11_vgpr12_vgpr13_vgpr14_vgpr15_vgpr16_vgpr17
	s_cbranch_vccnz .LBB28_25
; %bb.24:                               ;   in Loop: Header=BB28_4 Depth=1
	v_add_co_u32 v10, vcc_lo, s12, v26
	v_add_co_ci_u32_e64 v11, null, s13, v28, vcc_lo
	v_add_co_u32 v14, vcc_lo, v8, 1
	v_add_co_ci_u32_e64 v15, null, 0, v9, vcc_lo
	global_load_dwordx4 v[10:13], v[10:11], off
	s_mov_b32 s26, 0
	s_waitcnt vmcnt(0)
	v_cmp_neq_f32_e32 vcc_lo, 0, v10
	v_cndmask_b32_e32 v14, v8, v14, vcc_lo
	v_cndmask_b32_e32 v10, v9, v15, vcc_lo
	v_add_co_u32 v15, vcc_lo, v14, 1
	v_add_co_ci_u32_e64 v16, null, 0, v10, vcc_lo
	v_cmp_neq_f32_e32 vcc_lo, 0, v11
	v_cndmask_b32_e32 v11, v14, v15, vcc_lo
	v_cndmask_b32_e32 v10, v10, v16, vcc_lo
	v_add_co_u32 v14, vcc_lo, v11, 1
	v_add_co_ci_u32_e64 v15, null, 0, v10, vcc_lo
	v_cmp_neq_f32_e32 vcc_lo, 0, v12
	v_mov_b32_e32 v12, v4
	v_cndmask_b32_e32 v16, v11, v14, vcc_lo
	v_cndmask_b32_e32 v15, v10, v15, vcc_lo
	v_mov_b32_e32 v10, v2
	v_mov_b32_e32 v11, v3
	;; [unrolled: 1-line block ×3, first 2 shown]
	v_add_co_u32 v41, vcc_lo, v16, 1
	v_add_co_ci_u32_e64 v17, null, 0, v15, vcc_lo
	v_cmp_neq_f32_e32 vcc_lo, 0, v13
	v_mov_b32_e32 v13, v5
	v_cndmask_b32_e32 v17, v15, v17, vcc_lo
	v_cndmask_b32_e32 v16, v16, v41, vcc_lo
	v_mov_b32_e32 v15, v7
.LBB28_25:                              ;   in Loop: Header=BB28_4 Depth=1
	s_andn2_b32 vcc_lo, exec_lo, s26
	s_cbranch_vccnz .LBB28_2
; %bb.26:                               ;   in Loop: Header=BB28_4 Depth=1
	v_add_co_u32 v10, vcc_lo, s12, v39
	v_add_co_ci_u32_e64 v11, null, s13, v40, vcc_lo
	global_load_dword v12, v[10:11], off offset:768
	v_add_co_u32 v10, vcc_lo, s12, v27
	v_add_co_ci_u32_e64 v11, null, s13, v38, vcc_lo
	global_load_dword v13, v[10:11], off offset:768
	;; [unrolled: 3-line block ×4, first 2 shown]
	v_add_co_u32 v11, vcc_lo, v8, 1
	v_add_co_ci_u32_e64 v15, null, 0, v9, vcc_lo
	s_waitcnt vmcnt(3)
	v_cmp_neq_f32_e32 vcc_lo, 0, v12
	v_cndmask_b32_e32 v8, v8, v11, vcc_lo
	v_cndmask_b32_e32 v9, v9, v15, vcc_lo
	v_add_co_u32 v11, vcc_lo, v8, 1
	v_add_co_ci_u32_e64 v12, null, 0, v9, vcc_lo
	s_waitcnt vmcnt(2)
	v_cmp_neq_f32_e32 vcc_lo, 0, v13
	v_cndmask_b32_e32 v8, v8, v11, vcc_lo
	v_cndmask_b32_e32 v9, v9, v12, vcc_lo
	;; [unrolled: 6-line block ×4, first 2 shown]
	v_mov_b32_e32 v17, v9
	v_mov_b32_e32 v16, v8
	;; [unrolled: 1-line block ×8, first 2 shown]
	s_branch .LBB28_2
.LBB28_27:
	s_or_b32 exec_lo, exec_lo, s24
.LBB28_28:
	s_or_b32 exec_lo, exec_lo, s23
	v_cmp_lt_i64_e64 s0, s[6:7], 1
	s_and_b32 vcc_lo, exec_lo, s0
	s_cbranch_vccnz .LBB28_134
; %bb.29:
	v_lshlrev_b64 v[10:11], 2, v[18:19]
	v_lshlrev_b64 v[26:27], 2, v[20:21]
	s_cmp_lg_u32 s22, 1
	s_mov_b32 s2, exec_lo
	s_cselect_b32 s1, -1, 0
	v_add_co_u32 v34, s0, s12, v10
	v_add_co_ci_u32_e64 v35, null, s13, v11, s0
	v_cmpx_gt_i64_e64 s[8:9], v[20:21]
	s_cbranch_execz .LBB28_55
; %bb.30:
	v_mad_u64_u32 v[10:11], null, v20, s14, 0
	v_mov_b32_e32 v1, v11
	v_mad_u64_u32 v[11:12], null, v20, s15, v[1:2]
	v_lshlrev_b64 v[10:11], 2, v[10:11]
	v_add_co_u32 v28, s0, v34, v10
	v_add_co_ci_u32_e64 v29, null, v35, v11, s0
	v_add_co_u32 v1, s0, s12, v26
	v_add_co_ci_u32_e64 v20, null, s13, v27, s0
	s_mov_b32 s0, exec_lo
	v_cmpx_gt_i64_e64 s[10:11], v[18:19]
	s_cbranch_execz .LBB28_36
; %bb.31:
	s_and_b32 vcc_lo, exec_lo, s1
	s_cbranch_vccz .LBB28_33
; %bb.32:
	global_load_dword v10, v[28:29], off
	s_waitcnt vmcnt(0)
	v_cmp_neq_f32_e32 vcc_lo, 0, v10
	v_cndmask_b32_e64 v10, 0, 1, vcc_lo
	v_add_co_u32 v23, vcc_lo, v2, v10
	v_add_co_ci_u32_e64 v25, null, 0, v3, vcc_lo
	v_mov_b32_e32 v17, v9
	v_mov_b32_e32 v11, v3
	;; [unrolled: 1-line block ×10, first 2 shown]
	s_cbranch_execz .LBB28_34
	s_branch .LBB28_35
.LBB28_33:
                                        ; implicit-def: $vgpr10_vgpr11_vgpr12_vgpr13_vgpr14_vgpr15_vgpr16_vgpr17
.LBB28_34:
	v_mul_lo_u32 v12, v19, s14
	v_mul_lo_u32 v13, v18, s15
	v_mad_u64_u32 v[10:11], null, v18, s14, 0
	v_add3_u32 v11, v11, v13, v12
	v_lshlrev_b64 v[10:11], 2, v[10:11]
	v_add_co_u32 v10, vcc_lo, v1, v10
	v_add_co_ci_u32_e64 v11, null, v20, v11, vcc_lo
	global_load_dword v10, v[10:11], off
	s_waitcnt vmcnt(0)
	v_cmp_neq_f32_e32 vcc_lo, 0, v10
	v_cndmask_b32_e64 v10, 0, 1, vcc_lo
	v_add_co_u32 v2, vcc_lo, v2, v10
	v_add_co_ci_u32_e64 v3, null, 0, v3, vcc_lo
	v_mov_b32_e32 v17, v9
	v_mov_b32_e32 v16, v8
	;; [unrolled: 1-line block ×8, first 2 shown]
.LBB28_35:
	v_mov_b32_e32 v2, v10
	v_mov_b32_e32 v3, v11
	v_mov_b32_e32 v4, v12
	v_mov_b32_e32 v5, v13
	v_mov_b32_e32 v6, v14
	v_mov_b32_e32 v7, v15
	v_mov_b32_e32 v8, v16
	v_mov_b32_e32 v9, v17
.LBB28_36:
	s_or_b32 exec_lo, exec_lo, s0
	v_or_b32_e32 v30, 1, v18
	v_mov_b32_e32 v31, v19
	s_mov_b32 s0, exec_lo
	v_cmpx_gt_i64_e64 s[10:11], v[30:31]
	s_cbranch_execz .LBB28_42
; %bb.37:
	s_andn2_b32 vcc_lo, exec_lo, s1
	s_cbranch_vccnz .LBB28_39
; %bb.38:
	global_load_dword v10, v[28:29], off offset:4
	s_waitcnt vmcnt(0)
	v_cmp_neq_f32_e32 vcc_lo, 0, v10
	v_cndmask_b32_e64 v10, 0, 1, vcc_lo
	v_add_co_u32 v23, vcc_lo, v2, v10
	v_add_co_ci_u32_e64 v25, null, 0, v3, vcc_lo
	v_mov_b32_e32 v17, v9
	v_mov_b32_e32 v11, v3
	v_mov_b32_e32 v10, v2
	v_mov_b32_e32 v16, v8
	v_mov_b32_e32 v15, v7
	v_mov_b32_e32 v14, v6
	v_mov_b32_e32 v13, v5
	v_mov_b32_e32 v12, v4
	v_mov_b32_e32 v10, v23
	v_mov_b32_e32 v11, v25
	s_cbranch_execz .LBB28_40
	s_branch .LBB28_41
.LBB28_39:
                                        ; implicit-def: $vgpr10_vgpr11_vgpr12_vgpr13_vgpr14_vgpr15_vgpr16_vgpr17
.LBB28_40:
	v_mul_lo_u32 v12, v31, s14
	v_mul_lo_u32 v13, v30, s15
	v_mad_u64_u32 v[10:11], null, v30, s14, 0
	v_add3_u32 v11, v11, v13, v12
	v_lshlrev_b64 v[10:11], 2, v[10:11]
	v_add_co_u32 v10, vcc_lo, v1, v10
	v_add_co_ci_u32_e64 v11, null, v20, v11, vcc_lo
	global_load_dword v10, v[10:11], off
	s_waitcnt vmcnt(0)
	v_cmp_neq_f32_e32 vcc_lo, 0, v10
	v_cndmask_b32_e64 v10, 0, 1, vcc_lo
	v_add_co_u32 v2, vcc_lo, v2, v10
	v_add_co_ci_u32_e64 v3, null, 0, v3, vcc_lo
	v_mov_b32_e32 v17, v9
	v_mov_b32_e32 v16, v8
	v_mov_b32_e32 v15, v7
	v_mov_b32_e32 v14, v6
	v_mov_b32_e32 v13, v5
	v_mov_b32_e32 v12, v4
	v_mov_b32_e32 v11, v3
	v_mov_b32_e32 v10, v2
.LBB28_41:
	v_mov_b32_e32 v2, v10
	v_mov_b32_e32 v3, v11
	v_mov_b32_e32 v4, v12
	v_mov_b32_e32 v5, v13
	v_mov_b32_e32 v6, v14
	v_mov_b32_e32 v7, v15
	v_mov_b32_e32 v8, v16
	v_mov_b32_e32 v9, v17
.LBB28_42:
	s_or_b32 exec_lo, exec_lo, s0
	v_or_b32_e32 v30, 2, v18
	v_mov_b32_e32 v31, v19
	s_mov_b32 s0, exec_lo
	v_cmpx_gt_i64_e64 s[10:11], v[30:31]
	s_cbranch_execz .LBB28_48
; %bb.43:
	s_andn2_b32 vcc_lo, exec_lo, s1
	s_cbranch_vccnz .LBB28_45
; %bb.44:
	global_load_dword v10, v[28:29], off offset:8
	s_waitcnt vmcnt(0)
	v_cmp_neq_f32_e32 vcc_lo, 0, v10
	v_cndmask_b32_e64 v10, 0, 1, vcc_lo
	v_add_co_u32 v23, vcc_lo, v2, v10
	v_add_co_ci_u32_e64 v25, null, 0, v3, vcc_lo
	v_mov_b32_e32 v17, v9
	v_mov_b32_e32 v11, v3
	v_mov_b32_e32 v10, v2
	v_mov_b32_e32 v16, v8
	v_mov_b32_e32 v15, v7
	v_mov_b32_e32 v14, v6
	v_mov_b32_e32 v13, v5
	v_mov_b32_e32 v12, v4
	v_mov_b32_e32 v10, v23
	v_mov_b32_e32 v11, v25
	s_cbranch_execz .LBB28_46
	s_branch .LBB28_47
.LBB28_45:
                                        ; implicit-def: $vgpr10_vgpr11_vgpr12_vgpr13_vgpr14_vgpr15_vgpr16_vgpr17
.LBB28_46:
	v_mul_lo_u32 v12, v31, s14
	v_mul_lo_u32 v13, v30, s15
	v_mad_u64_u32 v[10:11], null, v30, s14, 0
	v_add3_u32 v11, v11, v13, v12
	v_lshlrev_b64 v[10:11], 2, v[10:11]
	v_add_co_u32 v10, vcc_lo, v1, v10
	v_add_co_ci_u32_e64 v11, null, v20, v11, vcc_lo
	global_load_dword v10, v[10:11], off
	s_waitcnt vmcnt(0)
	v_cmp_neq_f32_e32 vcc_lo, 0, v10
	v_cndmask_b32_e64 v10, 0, 1, vcc_lo
	v_add_co_u32 v2, vcc_lo, v2, v10
	v_add_co_ci_u32_e64 v3, null, 0, v3, vcc_lo
	v_mov_b32_e32 v17, v9
	v_mov_b32_e32 v16, v8
	v_mov_b32_e32 v15, v7
	v_mov_b32_e32 v14, v6
	v_mov_b32_e32 v13, v5
	v_mov_b32_e32 v12, v4
	v_mov_b32_e32 v11, v3
	v_mov_b32_e32 v10, v2
.LBB28_47:
	v_mov_b32_e32 v2, v10
	v_mov_b32_e32 v3, v11
	v_mov_b32_e32 v4, v12
	v_mov_b32_e32 v5, v13
	v_mov_b32_e32 v6, v14
	v_mov_b32_e32 v7, v15
	v_mov_b32_e32 v8, v16
	v_mov_b32_e32 v9, v17
.LBB28_48:
	;; [unrolled: 62-line block ×3, first 2 shown]
	s_or_b32 exec_lo, exec_lo, s0
.LBB28_55:
	s_or_b32 exec_lo, exec_lo, s2
	v_mov_b32_e32 v25, v21
	s_mov_b32 s2, exec_lo
	v_cmpx_gt_i64_e64 s[8:9], v[24:25]
	s_cbranch_execz .LBB28_81
; %bb.56:
	v_mad_u64_u32 v[10:11], null, v24, s14, 0
	v_mov_b32_e32 v1, v11
	v_mad_u64_u32 v[11:12], null, v24, s15, v[1:2]
	v_lshlrev_b64 v[10:11], 2, v[10:11]
	v_add_co_u32 v23, s0, v34, v10
	v_add_co_ci_u32_e64 v24, null, v35, v11, s0
	v_add_co_u32 v1, s0, s12, v26
	v_add_co_ci_u32_e64 v20, null, s13, v27, s0
	s_mov_b32 s0, exec_lo
	v_cmpx_gt_i64_e64 s[10:11], v[18:19]
	s_cbranch_execz .LBB28_62
; %bb.57:
	s_andn2_b32 vcc_lo, exec_lo, s1
	s_cbranch_vccnz .LBB28_59
; %bb.58:
	global_load_dword v10, v[23:24], off
	s_waitcnt vmcnt(0)
	v_cmp_neq_f32_e32 vcc_lo, 0, v10
	v_cndmask_b32_e64 v10, 0, 1, vcc_lo
	v_add_co_u32 v25, vcc_lo, v4, v10
	v_add_co_ci_u32_e64 v28, null, 0, v5, vcc_lo
	v_mov_b32_e32 v17, v9
	v_mov_b32_e32 v13, v5
	;; [unrolled: 1-line block ×10, first 2 shown]
	s_cbranch_execz .LBB28_60
	s_branch .LBB28_61
.LBB28_59:
                                        ; implicit-def: $vgpr10_vgpr11_vgpr12_vgpr13_vgpr14_vgpr15_vgpr16_vgpr17
.LBB28_60:
	v_mul_lo_u32 v12, v19, s14
	v_mul_lo_u32 v13, v18, s15
	v_mad_u64_u32 v[10:11], null, v18, s14, 0
	v_add3_u32 v11, v11, v13, v12
	v_lshlrev_b64 v[10:11], 2, v[10:11]
	v_add_co_u32 v10, vcc_lo, v1, v10
	v_add_co_ci_u32_e64 v11, null, v20, v11, vcc_lo
	global_load_dword v10, v[10:11], off offset:256
	s_waitcnt vmcnt(0)
	v_cmp_neq_f32_e32 vcc_lo, 0, v10
	v_cndmask_b32_e64 v10, 0, 1, vcc_lo
	v_add_co_u32 v4, vcc_lo, v4, v10
	v_add_co_ci_u32_e64 v5, null, 0, v5, vcc_lo
	v_mov_b32_e32 v17, v9
	v_mov_b32_e32 v16, v8
	;; [unrolled: 1-line block ×8, first 2 shown]
.LBB28_61:
	v_mov_b32_e32 v2, v10
	v_mov_b32_e32 v3, v11
	;; [unrolled: 1-line block ×8, first 2 shown]
.LBB28_62:
	s_or_b32 exec_lo, exec_lo, s0
	v_or_b32_e32 v28, 1, v18
	v_mov_b32_e32 v29, v19
	s_mov_b32 s0, exec_lo
	v_cmpx_gt_i64_e64 s[10:11], v[28:29]
	s_cbranch_execz .LBB28_68
; %bb.63:
	s_andn2_b32 vcc_lo, exec_lo, s1
	s_cbranch_vccnz .LBB28_65
; %bb.64:
	global_load_dword v10, v[23:24], off offset:4
	s_waitcnt vmcnt(0)
	v_cmp_neq_f32_e32 vcc_lo, 0, v10
	v_cndmask_b32_e64 v10, 0, 1, vcc_lo
	v_add_co_u32 v25, vcc_lo, v4, v10
	v_add_co_ci_u32_e64 v30, null, 0, v5, vcc_lo
	v_mov_b32_e32 v17, v9
	v_mov_b32_e32 v13, v5
	v_mov_b32_e32 v12, v4
	v_mov_b32_e32 v16, v8
	v_mov_b32_e32 v15, v7
	v_mov_b32_e32 v14, v6
	v_mov_b32_e32 v11, v3
	v_mov_b32_e32 v10, v2
	v_mov_b32_e32 v12, v25
	v_mov_b32_e32 v13, v30
	s_cbranch_execz .LBB28_66
	s_branch .LBB28_67
.LBB28_65:
                                        ; implicit-def: $vgpr10_vgpr11_vgpr12_vgpr13_vgpr14_vgpr15_vgpr16_vgpr17
.LBB28_66:
	v_mul_lo_u32 v12, v29, s14
	v_mul_lo_u32 v13, v28, s15
	v_mad_u64_u32 v[10:11], null, v28, s14, 0
	v_add3_u32 v11, v11, v13, v12
	v_lshlrev_b64 v[10:11], 2, v[10:11]
	v_add_co_u32 v10, vcc_lo, v1, v10
	v_add_co_ci_u32_e64 v11, null, v20, v11, vcc_lo
	global_load_dword v10, v[10:11], off offset:256
	s_waitcnt vmcnt(0)
	v_cmp_neq_f32_e32 vcc_lo, 0, v10
	v_cndmask_b32_e64 v10, 0, 1, vcc_lo
	v_add_co_u32 v4, vcc_lo, v4, v10
	v_add_co_ci_u32_e64 v5, null, 0, v5, vcc_lo
	v_mov_b32_e32 v17, v9
	v_mov_b32_e32 v16, v8
	v_mov_b32_e32 v15, v7
	v_mov_b32_e32 v14, v6
	v_mov_b32_e32 v13, v5
	v_mov_b32_e32 v12, v4
	v_mov_b32_e32 v11, v3
	v_mov_b32_e32 v10, v2
.LBB28_67:
	v_mov_b32_e32 v2, v10
	v_mov_b32_e32 v3, v11
	v_mov_b32_e32 v4, v12
	v_mov_b32_e32 v5, v13
	v_mov_b32_e32 v6, v14
	v_mov_b32_e32 v7, v15
	v_mov_b32_e32 v8, v16
	v_mov_b32_e32 v9, v17
.LBB28_68:
	s_or_b32 exec_lo, exec_lo, s0
	v_or_b32_e32 v28, 2, v18
	v_mov_b32_e32 v29, v19
	s_mov_b32 s0, exec_lo
	v_cmpx_gt_i64_e64 s[10:11], v[28:29]
	s_cbranch_execz .LBB28_74
; %bb.69:
	s_andn2_b32 vcc_lo, exec_lo, s1
	s_cbranch_vccnz .LBB28_71
; %bb.70:
	global_load_dword v10, v[23:24], off offset:8
	s_waitcnt vmcnt(0)
	v_cmp_neq_f32_e32 vcc_lo, 0, v10
	v_cndmask_b32_e64 v10, 0, 1, vcc_lo
	v_add_co_u32 v25, vcc_lo, v4, v10
	v_add_co_ci_u32_e64 v30, null, 0, v5, vcc_lo
	v_mov_b32_e32 v17, v9
	v_mov_b32_e32 v13, v5
	v_mov_b32_e32 v12, v4
	v_mov_b32_e32 v16, v8
	v_mov_b32_e32 v15, v7
	v_mov_b32_e32 v14, v6
	v_mov_b32_e32 v11, v3
	v_mov_b32_e32 v10, v2
	v_mov_b32_e32 v12, v25
	v_mov_b32_e32 v13, v30
	s_cbranch_execz .LBB28_72
	s_branch .LBB28_73
.LBB28_71:
                                        ; implicit-def: $vgpr10_vgpr11_vgpr12_vgpr13_vgpr14_vgpr15_vgpr16_vgpr17
.LBB28_72:
	v_mul_lo_u32 v12, v29, s14
	v_mul_lo_u32 v13, v28, s15
	v_mad_u64_u32 v[10:11], null, v28, s14, 0
	v_add3_u32 v11, v11, v13, v12
	v_lshlrev_b64 v[10:11], 2, v[10:11]
	v_add_co_u32 v10, vcc_lo, v1, v10
	v_add_co_ci_u32_e64 v11, null, v20, v11, vcc_lo
	global_load_dword v10, v[10:11], off offset:256
	s_waitcnt vmcnt(0)
	v_cmp_neq_f32_e32 vcc_lo, 0, v10
	v_cndmask_b32_e64 v10, 0, 1, vcc_lo
	v_add_co_u32 v4, vcc_lo, v4, v10
	v_add_co_ci_u32_e64 v5, null, 0, v5, vcc_lo
	v_mov_b32_e32 v17, v9
	v_mov_b32_e32 v16, v8
	v_mov_b32_e32 v15, v7
	v_mov_b32_e32 v14, v6
	v_mov_b32_e32 v13, v5
	v_mov_b32_e32 v12, v4
	v_mov_b32_e32 v11, v3
	v_mov_b32_e32 v10, v2
.LBB28_73:
	v_mov_b32_e32 v2, v10
	v_mov_b32_e32 v3, v11
	v_mov_b32_e32 v4, v12
	v_mov_b32_e32 v5, v13
	v_mov_b32_e32 v6, v14
	v_mov_b32_e32 v7, v15
	v_mov_b32_e32 v8, v16
	v_mov_b32_e32 v9, v17
.LBB28_74:
	;; [unrolled: 62-line block ×3, first 2 shown]
	s_or_b32 exec_lo, exec_lo, s0
.LBB28_81:
	s_or_b32 exec_lo, exec_lo, s2
	v_mov_b32_e32 v23, v21
	s_mov_b32 s2, exec_lo
	v_cmpx_gt_i64_e64 s[8:9], v[22:23]
	s_cbranch_execz .LBB28_107
; %bb.82:
	v_mad_u64_u32 v[10:11], null, v22, s14, 0
	v_mov_b32_e32 v1, v11
	v_mad_u64_u32 v[11:12], null, v22, s15, v[1:2]
	v_lshlrev_b64 v[10:11], 2, v[10:11]
	v_add_co_u32 v22, s0, v34, v10
	v_add_co_ci_u32_e64 v23, null, v35, v11, s0
	v_add_co_u32 v1, s0, s12, v26
	v_add_co_ci_u32_e64 v20, null, s13, v27, s0
	s_mov_b32 s0, exec_lo
	v_cmpx_gt_i64_e64 s[10:11], v[18:19]
	s_cbranch_execz .LBB28_88
; %bb.83:
	s_andn2_b32 vcc_lo, exec_lo, s1
	s_cbranch_vccnz .LBB28_85
; %bb.84:
	global_load_dword v10, v[22:23], off
	s_waitcnt vmcnt(0)
	v_cmp_neq_f32_e32 vcc_lo, 0, v10
	v_cndmask_b32_e64 v10, 0, 1, vcc_lo
	v_add_co_u32 v24, vcc_lo, v6, v10
	v_add_co_ci_u32_e64 v25, null, 0, v7, vcc_lo
	v_mov_b32_e32 v17, v9
	v_mov_b32_e32 v15, v7
	;; [unrolled: 1-line block ×10, first 2 shown]
	s_cbranch_execz .LBB28_86
	s_branch .LBB28_87
.LBB28_85:
                                        ; implicit-def: $vgpr10_vgpr11_vgpr12_vgpr13_vgpr14_vgpr15_vgpr16_vgpr17
.LBB28_86:
	v_mul_lo_u32 v12, v19, s14
	v_mul_lo_u32 v13, v18, s15
	v_mad_u64_u32 v[10:11], null, v18, s14, 0
	v_add3_u32 v11, v11, v13, v12
	v_lshlrev_b64 v[10:11], 2, v[10:11]
	v_add_co_u32 v10, vcc_lo, v1, v10
	v_add_co_ci_u32_e64 v11, null, v20, v11, vcc_lo
	global_load_dword v10, v[10:11], off offset:512
	s_waitcnt vmcnt(0)
	v_cmp_neq_f32_e32 vcc_lo, 0, v10
	v_cndmask_b32_e64 v10, 0, 1, vcc_lo
	v_add_co_u32 v6, vcc_lo, v6, v10
	v_add_co_ci_u32_e64 v7, null, 0, v7, vcc_lo
	v_mov_b32_e32 v17, v9
	v_mov_b32_e32 v16, v8
	;; [unrolled: 1-line block ×8, first 2 shown]
.LBB28_87:
	v_mov_b32_e32 v2, v10
	v_mov_b32_e32 v3, v11
	;; [unrolled: 1-line block ×8, first 2 shown]
.LBB28_88:
	s_or_b32 exec_lo, exec_lo, s0
	v_or_b32_e32 v24, 1, v18
	v_mov_b32_e32 v25, v19
	s_mov_b32 s0, exec_lo
	v_cmpx_gt_i64_e64 s[10:11], v[24:25]
	s_cbranch_execz .LBB28_94
; %bb.89:
	s_andn2_b32 vcc_lo, exec_lo, s1
	s_cbranch_vccnz .LBB28_91
; %bb.90:
	global_load_dword v10, v[22:23], off offset:4
	s_waitcnt vmcnt(0)
	v_cmp_neq_f32_e32 vcc_lo, 0, v10
	v_cndmask_b32_e64 v10, 0, 1, vcc_lo
	v_add_co_u32 v28, vcc_lo, v6, v10
	v_add_co_ci_u32_e64 v29, null, 0, v7, vcc_lo
	v_mov_b32_e32 v17, v9
	v_mov_b32_e32 v15, v7
	v_mov_b32_e32 v14, v6
	v_mov_b32_e32 v16, v8
	v_mov_b32_e32 v13, v5
	v_mov_b32_e32 v12, v4
	v_mov_b32_e32 v11, v3
	v_mov_b32_e32 v10, v2
	v_mov_b32_e32 v14, v28
	v_mov_b32_e32 v15, v29
	s_cbranch_execz .LBB28_92
	s_branch .LBB28_93
.LBB28_91:
                                        ; implicit-def: $vgpr10_vgpr11_vgpr12_vgpr13_vgpr14_vgpr15_vgpr16_vgpr17
.LBB28_92:
	v_mul_lo_u32 v12, v25, s14
	v_mul_lo_u32 v13, v24, s15
	v_mad_u64_u32 v[10:11], null, v24, s14, 0
	v_add3_u32 v11, v11, v13, v12
	v_lshlrev_b64 v[10:11], 2, v[10:11]
	v_add_co_u32 v10, vcc_lo, v1, v10
	v_add_co_ci_u32_e64 v11, null, v20, v11, vcc_lo
	global_load_dword v10, v[10:11], off offset:512
	s_waitcnt vmcnt(0)
	v_cmp_neq_f32_e32 vcc_lo, 0, v10
	v_cndmask_b32_e64 v10, 0, 1, vcc_lo
	v_add_co_u32 v6, vcc_lo, v6, v10
	v_add_co_ci_u32_e64 v7, null, 0, v7, vcc_lo
	v_mov_b32_e32 v17, v9
	v_mov_b32_e32 v16, v8
	v_mov_b32_e32 v14, v6
	v_mov_b32_e32 v15, v7
	v_mov_b32_e32 v13, v5
	v_mov_b32_e32 v12, v4
	v_mov_b32_e32 v11, v3
	v_mov_b32_e32 v10, v2
.LBB28_93:
	v_mov_b32_e32 v2, v10
	v_mov_b32_e32 v3, v11
	v_mov_b32_e32 v4, v12
	v_mov_b32_e32 v5, v13
	v_mov_b32_e32 v6, v14
	v_mov_b32_e32 v7, v15
	v_mov_b32_e32 v8, v16
	v_mov_b32_e32 v9, v17
.LBB28_94:
	s_or_b32 exec_lo, exec_lo, s0
	v_or_b32_e32 v24, 2, v18
	v_mov_b32_e32 v25, v19
	s_mov_b32 s0, exec_lo
	v_cmpx_gt_i64_e64 s[10:11], v[24:25]
	s_cbranch_execz .LBB28_100
; %bb.95:
	s_andn2_b32 vcc_lo, exec_lo, s1
	s_cbranch_vccnz .LBB28_97
; %bb.96:
	global_load_dword v10, v[22:23], off offset:8
	s_waitcnt vmcnt(0)
	v_cmp_neq_f32_e32 vcc_lo, 0, v10
	v_cndmask_b32_e64 v10, 0, 1, vcc_lo
	v_add_co_u32 v28, vcc_lo, v6, v10
	v_add_co_ci_u32_e64 v29, null, 0, v7, vcc_lo
	v_mov_b32_e32 v17, v9
	v_mov_b32_e32 v15, v7
	v_mov_b32_e32 v14, v6
	v_mov_b32_e32 v16, v8
	v_mov_b32_e32 v13, v5
	v_mov_b32_e32 v12, v4
	v_mov_b32_e32 v11, v3
	v_mov_b32_e32 v10, v2
	v_mov_b32_e32 v14, v28
	v_mov_b32_e32 v15, v29
	s_cbranch_execz .LBB28_98
	s_branch .LBB28_99
.LBB28_97:
                                        ; implicit-def: $vgpr10_vgpr11_vgpr12_vgpr13_vgpr14_vgpr15_vgpr16_vgpr17
.LBB28_98:
	v_mul_lo_u32 v12, v25, s14
	v_mul_lo_u32 v13, v24, s15
	v_mad_u64_u32 v[10:11], null, v24, s14, 0
	v_add3_u32 v11, v11, v13, v12
	v_lshlrev_b64 v[10:11], 2, v[10:11]
	v_add_co_u32 v10, vcc_lo, v1, v10
	v_add_co_ci_u32_e64 v11, null, v20, v11, vcc_lo
	global_load_dword v10, v[10:11], off offset:512
	s_waitcnt vmcnt(0)
	v_cmp_neq_f32_e32 vcc_lo, 0, v10
	v_cndmask_b32_e64 v10, 0, 1, vcc_lo
	v_add_co_u32 v6, vcc_lo, v6, v10
	v_add_co_ci_u32_e64 v7, null, 0, v7, vcc_lo
	v_mov_b32_e32 v17, v9
	v_mov_b32_e32 v16, v8
	v_mov_b32_e32 v14, v6
	v_mov_b32_e32 v15, v7
	v_mov_b32_e32 v13, v5
	v_mov_b32_e32 v12, v4
	v_mov_b32_e32 v11, v3
	v_mov_b32_e32 v10, v2
.LBB28_99:
	v_mov_b32_e32 v2, v10
	v_mov_b32_e32 v3, v11
	v_mov_b32_e32 v4, v12
	v_mov_b32_e32 v5, v13
	v_mov_b32_e32 v6, v14
	v_mov_b32_e32 v7, v15
	v_mov_b32_e32 v8, v16
	v_mov_b32_e32 v9, v17
.LBB28_100:
	;; [unrolled: 62-line block ×3, first 2 shown]
	s_or_b32 exec_lo, exec_lo, s0
.LBB28_107:
	s_or_b32 exec_lo, exec_lo, s2
	v_mov_b32_e32 v1, v21
	s_mov_b32 s2, exec_lo
	v_cmpx_gt_i64_e64 s[8:9], v[0:1]
	s_cbranch_execz .LBB28_133
; %bb.108:
	v_mad_u64_u32 v[10:11], null, v0, s14, 0
	v_add_co_u32 v22, vcc_lo, s12, v26
	v_add_co_ci_u32_e64 v23, null, s13, v27, vcc_lo
	v_cndmask_b32_e64 v24, 0, 1, s1
	v_mov_b32_e32 v1, v11
	v_mad_u64_u32 v[0:1], null, v0, s15, v[1:2]
	v_mov_b32_e32 v11, v0
	v_lshlrev_b64 v[0:1], 2, v[10:11]
	v_add_co_u32 v0, s0, v34, v0
	v_add_co_ci_u32_e64 v1, null, v35, v1, s0
	s_mov_b32 s0, exec_lo
	v_cmpx_gt_i64_e64 s[10:11], v[18:19]
	s_cbranch_execz .LBB28_114
; %bb.109:
	s_andn2_b32 vcc_lo, exec_lo, s1
	s_cbranch_vccnz .LBB28_111
; %bb.110:
	global_load_dword v10, v[0:1], off
	s_waitcnt vmcnt(0)
	v_cmp_neq_f32_e32 vcc_lo, 0, v10
	v_cndmask_b32_e64 v10, 0, 1, vcc_lo
	v_add_co_u32 v20, vcc_lo, v8, v10
	v_add_co_ci_u32_e64 v21, null, 0, v9, vcc_lo
	v_mov_b32_e32 v17, v9
	v_mov_b32_e32 v16, v8
	;; [unrolled: 1-line block ×10, first 2 shown]
	s_cbranch_execz .LBB28_112
	s_branch .LBB28_113
.LBB28_111:
                                        ; implicit-def: $vgpr10_vgpr11_vgpr12_vgpr13_vgpr14_vgpr15_vgpr16_vgpr17
.LBB28_112:
	v_mul_lo_u32 v12, v19, s14
	v_mul_lo_u32 v13, v18, s15
	v_mad_u64_u32 v[10:11], null, v18, s14, 0
	v_add3_u32 v11, v11, v13, v12
	v_lshlrev_b64 v[10:11], 2, v[10:11]
	v_add_co_u32 v10, vcc_lo, v22, v10
	v_add_co_ci_u32_e64 v11, null, v23, v11, vcc_lo
	global_load_dword v10, v[10:11], off offset:768
	s_waitcnt vmcnt(0)
	v_cmp_neq_f32_e32 vcc_lo, 0, v10
	v_cndmask_b32_e64 v10, 0, 1, vcc_lo
	v_add_co_u32 v8, vcc_lo, v8, v10
	v_add_co_ci_u32_e64 v9, null, 0, v9, vcc_lo
	v_mov_b32_e32 v17, v9
	v_mov_b32_e32 v16, v8
	;; [unrolled: 1-line block ×8, first 2 shown]
.LBB28_113:
	v_mov_b32_e32 v2, v10
	v_mov_b32_e32 v3, v11
	;; [unrolled: 1-line block ×8, first 2 shown]
.LBB28_114:
	s_or_b32 exec_lo, exec_lo, s0
	v_or_b32_e32 v20, 1, v18
	v_mov_b32_e32 v21, v19
	s_mov_b32 s0, exec_lo
	v_cmpx_gt_i64_e64 s[10:11], v[20:21]
	s_cbranch_execz .LBB28_120
; %bb.115:
	v_cmp_ne_u32_e32 vcc_lo, 1, v24
	s_cbranch_vccnz .LBB28_117
; %bb.116:
	global_load_dword v10, v[0:1], off offset:4
	s_waitcnt vmcnt(0)
	v_cmp_neq_f32_e32 vcc_lo, 0, v10
	v_cndmask_b32_e64 v10, 0, 1, vcc_lo
	v_add_co_u32 v25, vcc_lo, v8, v10
	v_add_co_ci_u32_e64 v26, null, 0, v9, vcc_lo
	v_mov_b32_e32 v17, v9
	v_mov_b32_e32 v16, v8
	;; [unrolled: 1-line block ×10, first 2 shown]
	s_cbranch_execz .LBB28_118
	s_branch .LBB28_119
.LBB28_117:
                                        ; implicit-def: $vgpr10_vgpr11_vgpr12_vgpr13_vgpr14_vgpr15_vgpr16_vgpr17
.LBB28_118:
	v_mul_lo_u32 v12, v21, s14
	v_mul_lo_u32 v13, v20, s15
	v_mad_u64_u32 v[10:11], null, v20, s14, 0
	v_add3_u32 v11, v11, v13, v12
	v_lshlrev_b64 v[10:11], 2, v[10:11]
	v_add_co_u32 v10, vcc_lo, v22, v10
	v_add_co_ci_u32_e64 v11, null, v23, v11, vcc_lo
	global_load_dword v10, v[10:11], off offset:768
	s_waitcnt vmcnt(0)
	v_cmp_neq_f32_e32 vcc_lo, 0, v10
	v_cndmask_b32_e64 v10, 0, 1, vcc_lo
	v_add_co_u32 v8, vcc_lo, v8, v10
	v_add_co_ci_u32_e64 v9, null, 0, v9, vcc_lo
	v_mov_b32_e32 v17, v9
	v_mov_b32_e32 v16, v8
	;; [unrolled: 1-line block ×8, first 2 shown]
.LBB28_119:
	v_mov_b32_e32 v2, v10
	v_mov_b32_e32 v3, v11
	;; [unrolled: 1-line block ×8, first 2 shown]
.LBB28_120:
	s_or_b32 exec_lo, exec_lo, s0
	v_or_b32_e32 v20, 2, v18
	v_mov_b32_e32 v21, v19
	s_mov_b32 s0, exec_lo
	v_cmpx_gt_i64_e64 s[10:11], v[20:21]
	s_cbranch_execz .LBB28_126
; %bb.121:
	v_cmp_ne_u32_e32 vcc_lo, 1, v24
	s_cbranch_vccnz .LBB28_123
; %bb.122:
	global_load_dword v10, v[0:1], off offset:8
	s_waitcnt vmcnt(0)
	v_cmp_neq_f32_e32 vcc_lo, 0, v10
	v_cndmask_b32_e64 v10, 0, 1, vcc_lo
	v_add_co_u32 v25, vcc_lo, v8, v10
	v_add_co_ci_u32_e64 v26, null, 0, v9, vcc_lo
	v_mov_b32_e32 v17, v9
	v_mov_b32_e32 v16, v8
	;; [unrolled: 1-line block ×10, first 2 shown]
	s_cbranch_execz .LBB28_124
	s_branch .LBB28_125
.LBB28_123:
                                        ; implicit-def: $vgpr10_vgpr11_vgpr12_vgpr13_vgpr14_vgpr15_vgpr16_vgpr17
.LBB28_124:
	v_mul_lo_u32 v12, v21, s14
	v_mul_lo_u32 v13, v20, s15
	v_mad_u64_u32 v[10:11], null, v20, s14, 0
	v_add3_u32 v11, v11, v13, v12
	v_lshlrev_b64 v[10:11], 2, v[10:11]
	v_add_co_u32 v10, vcc_lo, v22, v10
	v_add_co_ci_u32_e64 v11, null, v23, v11, vcc_lo
	global_load_dword v10, v[10:11], off offset:768
	s_waitcnt vmcnt(0)
	v_cmp_neq_f32_e32 vcc_lo, 0, v10
	v_cndmask_b32_e64 v10, 0, 1, vcc_lo
	v_add_co_u32 v8, vcc_lo, v8, v10
	v_add_co_ci_u32_e64 v9, null, 0, v9, vcc_lo
	v_mov_b32_e32 v17, v9
	v_mov_b32_e32 v16, v8
	;; [unrolled: 1-line block ×8, first 2 shown]
.LBB28_125:
	v_mov_b32_e32 v2, v10
	v_mov_b32_e32 v3, v11
	;; [unrolled: 1-line block ×8, first 2 shown]
.LBB28_126:
	s_or_b32 exec_lo, exec_lo, s0
	v_or_b32_e32 v18, 3, v18
	s_mov_b32 s0, exec_lo
	v_cmpx_gt_i64_e64 s[10:11], v[18:19]
	s_cbranch_execz .LBB28_132
; %bb.127:
	v_cmp_ne_u32_e32 vcc_lo, 1, v24
	s_cbranch_vccnz .LBB28_129
; %bb.128:
	global_load_dword v0, v[0:1], off offset:12
	v_mov_b32_e32 v17, v9
	v_mov_b32_e32 v16, v8
	;; [unrolled: 1-line block ×8, first 2 shown]
	s_waitcnt vmcnt(0)
	v_cmp_neq_f32_e32 vcc_lo, 0, v0
	v_cndmask_b32_e64 v0, 0, 1, vcc_lo
	v_add_co_u32 v0, vcc_lo, v8, v0
	v_add_co_ci_u32_e64 v1, null, 0, v9, vcc_lo
	v_mov_b32_e32 v16, v0
	v_mov_b32_e32 v17, v1
	s_cbranch_execz .LBB28_130
	s_branch .LBB28_131
.LBB28_129:
                                        ; implicit-def: $vgpr10_vgpr11_vgpr12_vgpr13_vgpr14_vgpr15_vgpr16_vgpr17
.LBB28_130:
	v_mul_lo_u32 v10, v19, s14
	v_mul_lo_u32 v11, v18, s15
	v_mad_u64_u32 v[0:1], null, v18, s14, 0
	v_add3_u32 v1, v1, v11, v10
	v_lshlrev_b64 v[0:1], 2, v[0:1]
	v_add_co_u32 v0, vcc_lo, v22, v0
	v_add_co_ci_u32_e64 v1, null, v23, v1, vcc_lo
	global_load_dword v0, v[0:1], off offset:768
	s_waitcnt vmcnt(0)
	v_cmp_neq_f32_e32 vcc_lo, 0, v0
	v_cndmask_b32_e64 v0, 0, 1, vcc_lo
	v_add_co_u32 v8, vcc_lo, v8, v0
	v_add_co_ci_u32_e64 v9, null, 0, v9, vcc_lo
	v_mov_b32_e32 v17, v9
	v_mov_b32_e32 v16, v8
	;; [unrolled: 1-line block ×8, first 2 shown]
.LBB28_131:
	v_mov_b32_e32 v2, v10
	v_mov_b32_e32 v3, v11
	;; [unrolled: 1-line block ×8, first 2 shown]
.LBB28_132:
	s_or_b32 exec_lo, exec_lo, s0
.LBB28_133:
	s_or_b32 exec_lo, exec_lo, s2
.LBB28_134:
	v_lshlrev_b32_e32 v0, 5, v32
	v_lshlrev_b32_e32 v1, 3, v33
	s_mov_b32 s0, exec_lo
	v_and_or_b32 v0, 0xfffff800, v0, v1
	ds_write2st64_b64 v0, v[2:3], v[4:5] offset1:1
	ds_write2st64_b64 v0, v[6:7], v[8:9] offset0:2 offset1:3
	s_waitcnt lgkmcnt(0)
	s_barrier
	buffer_gl0_inv
	v_cmpx_gt_u32_e32 0x100, v32
	s_cbranch_execz .LBB28_137
; %bb.135:
	v_lshlrev_b32_e32 v12, 3, v32
	ds_read2st64_b64 v[0:3], v12 offset1:4
	ds_read2st64_b64 v[4:7], v12 offset0:8 offset1:12
	ds_read2st64_b64 v[8:11], v12 offset0:16 offset1:20
	s_waitcnt lgkmcnt(2)
	v_add_co_u32 v13, vcc_lo, v0, v2
	v_add_co_ci_u32_e64 v14, null, v1, v3, vcc_lo
	ds_read2st64_b64 v[0:3], v12 offset0:24 offset1:28
	s_waitcnt lgkmcnt(2)
	v_add_co_u32 v4, vcc_lo, v13, v4
	v_add_co_ci_u32_e64 v5, null, v14, v5, vcc_lo
	v_add_co_u32 v13, vcc_lo, v4, v6
	v_add_co_ci_u32_e64 v14, null, v5, v7, vcc_lo
	ds_read2st64_b64 v[4:7], v12 offset0:32 offset1:36
	s_waitcnt lgkmcnt(2)
	v_add_co_u32 v8, vcc_lo, v13, v8
	v_add_co_ci_u32_e64 v9, null, v14, v9, vcc_lo
	v_add_co_u32 v13, vcc_lo, v8, v10
	v_add_co_ci_u32_e64 v14, null, v9, v11, vcc_lo
	ds_read2st64_b64 v[8:11], v12 offset0:40 offset1:44
	s_waitcnt lgkmcnt(2)
	v_add_co_u32 v0, vcc_lo, v13, v0
	v_add_co_ci_u32_e64 v1, null, v14, v1, vcc_lo
	v_add_co_u32 v13, vcc_lo, v0, v2
	v_add_co_ci_u32_e64 v14, null, v1, v3, vcc_lo
	ds_read2st64_b64 v[0:3], v12 offset0:48 offset1:52
	s_waitcnt lgkmcnt(2)
	v_add_co_u32 v4, vcc_lo, v13, v4
	v_add_co_ci_u32_e64 v5, null, v14, v5, vcc_lo
	v_add_co_u32 v13, vcc_lo, v4, v6
	v_add_co_ci_u32_e64 v14, null, v5, v7, vcc_lo
	ds_read2st64_b64 v[4:7], v12 offset0:56 offset1:60
	s_waitcnt lgkmcnt(2)
	v_add_co_u32 v8, vcc_lo, v13, v8
	v_add_co_ci_u32_e64 v9, null, v14, v9, vcc_lo
	v_add_co_u32 v8, vcc_lo, v8, v10
	v_add_co_ci_u32_e64 v9, null, v9, v11, vcc_lo
	s_waitcnt lgkmcnt(1)
	v_add_co_u32 v0, vcc_lo, v8, v0
	v_add_co_ci_u32_e64 v1, null, v9, v1, vcc_lo
	v_add_co_u32 v0, vcc_lo, v0, v2
	v_add_co_ci_u32_e64 v1, null, v1, v3, vcc_lo
	v_add_co_u32 v2, s0, v32, s5
	s_waitcnt lgkmcnt(0)
	v_add_co_u32 v0, vcc_lo, v0, v4
	v_add_co_ci_u32_e64 v1, null, v1, v5, vcc_lo
	v_add_co_ci_u32_e64 v3, null, 0, 0, s0
	v_add_co_u32 v0, vcc_lo, v0, v6
	v_add_co_ci_u32_e64 v1, null, v1, v7, vcc_lo
	v_cmp_gt_i64_e32 vcc_lo, s[8:9], v[2:3]
	ds_write_b64 v12, v[0:1]
	s_and_b32 exec_lo, exec_lo, vcc_lo
	s_cbranch_execz .LBB28_137
; %bb.136:
	v_lshlrev_b64 v[2:3], 3, v[2:3]
	v_add_co_u32 v2, vcc_lo, s16, v2
	v_add_co_ci_u32_e64 v3, null, s17, v3, vcc_lo
	global_store_dwordx2 v[2:3], v[0:1], off
.LBB28_137:
	s_endpgm
	.section	.rodata,"a",@progbits
	.p2align	6, 0x0
	.amdhsa_kernel _ZN9rocsparseL14nnz_kernel_rowILi64ELi16EllfEEv16rocsparse_order_T2_S2_PKT3_lPT1_
		.amdhsa_group_segment_fixed_size 32768
		.amdhsa_private_segment_fixed_size 0
		.amdhsa_kernarg_size 304
		.amdhsa_user_sgpr_count 6
		.amdhsa_user_sgpr_private_segment_buffer 1
		.amdhsa_user_sgpr_dispatch_ptr 0
		.amdhsa_user_sgpr_queue_ptr 0
		.amdhsa_user_sgpr_kernarg_segment_ptr 1
		.amdhsa_user_sgpr_dispatch_id 0
		.amdhsa_user_sgpr_flat_scratch_init 0
		.amdhsa_user_sgpr_private_segment_size 0
		.amdhsa_wavefront_size32 1
		.amdhsa_uses_dynamic_stack 0
		.amdhsa_system_sgpr_private_segment_wavefront_offset 0
		.amdhsa_system_sgpr_workgroup_id_x 1
		.amdhsa_system_sgpr_workgroup_id_y 0
		.amdhsa_system_sgpr_workgroup_id_z 0
		.amdhsa_system_sgpr_workgroup_info 0
		.amdhsa_system_vgpr_workitem_id 1
		.amdhsa_next_free_vgpr 43
		.amdhsa_next_free_sgpr 27
		.amdhsa_reserve_vcc 1
		.amdhsa_reserve_flat_scratch 0
		.amdhsa_float_round_mode_32 0
		.amdhsa_float_round_mode_16_64 0
		.amdhsa_float_denorm_mode_32 3
		.amdhsa_float_denorm_mode_16_64 3
		.amdhsa_dx10_clamp 1
		.amdhsa_ieee_mode 1
		.amdhsa_fp16_overflow 0
		.amdhsa_workgroup_processor_mode 1
		.amdhsa_memory_ordered 1
		.amdhsa_forward_progress 1
		.amdhsa_shared_vgpr_count 0
		.amdhsa_exception_fp_ieee_invalid_op 0
		.amdhsa_exception_fp_denorm_src 0
		.amdhsa_exception_fp_ieee_div_zero 0
		.amdhsa_exception_fp_ieee_overflow 0
		.amdhsa_exception_fp_ieee_underflow 0
		.amdhsa_exception_fp_ieee_inexact 0
		.amdhsa_exception_int_div_zero 0
	.end_amdhsa_kernel
	.section	.text._ZN9rocsparseL14nnz_kernel_rowILi64ELi16EllfEEv16rocsparse_order_T2_S2_PKT3_lPT1_,"axG",@progbits,_ZN9rocsparseL14nnz_kernel_rowILi64ELi16EllfEEv16rocsparse_order_T2_S2_PKT3_lPT1_,comdat
.Lfunc_end28:
	.size	_ZN9rocsparseL14nnz_kernel_rowILi64ELi16EllfEEv16rocsparse_order_T2_S2_PKT3_lPT1_, .Lfunc_end28-_ZN9rocsparseL14nnz_kernel_rowILi64ELi16EllfEEv16rocsparse_order_T2_S2_PKT3_lPT1_
                                        ; -- End function
	.set _ZN9rocsparseL14nnz_kernel_rowILi64ELi16EllfEEv16rocsparse_order_T2_S2_PKT3_lPT1_.num_vgpr, 43
	.set _ZN9rocsparseL14nnz_kernel_rowILi64ELi16EllfEEv16rocsparse_order_T2_S2_PKT3_lPT1_.num_agpr, 0
	.set _ZN9rocsparseL14nnz_kernel_rowILi64ELi16EllfEEv16rocsparse_order_T2_S2_PKT3_lPT1_.numbered_sgpr, 27
	.set _ZN9rocsparseL14nnz_kernel_rowILi64ELi16EllfEEv16rocsparse_order_T2_S2_PKT3_lPT1_.num_named_barrier, 0
	.set _ZN9rocsparseL14nnz_kernel_rowILi64ELi16EllfEEv16rocsparse_order_T2_S2_PKT3_lPT1_.private_seg_size, 0
	.set _ZN9rocsparseL14nnz_kernel_rowILi64ELi16EllfEEv16rocsparse_order_T2_S2_PKT3_lPT1_.uses_vcc, 1
	.set _ZN9rocsparseL14nnz_kernel_rowILi64ELi16EllfEEv16rocsparse_order_T2_S2_PKT3_lPT1_.uses_flat_scratch, 0
	.set _ZN9rocsparseL14nnz_kernel_rowILi64ELi16EllfEEv16rocsparse_order_T2_S2_PKT3_lPT1_.has_dyn_sized_stack, 0
	.set _ZN9rocsparseL14nnz_kernel_rowILi64ELi16EllfEEv16rocsparse_order_T2_S2_PKT3_lPT1_.has_recursion, 0
	.set _ZN9rocsparseL14nnz_kernel_rowILi64ELi16EllfEEv16rocsparse_order_T2_S2_PKT3_lPT1_.has_indirect_call, 0
	.section	.AMDGPU.csdata,"",@progbits
; Kernel info:
; codeLenInByte = 8292
; TotalNumSgprs: 29
; NumVgprs: 43
; ScratchSize: 0
; MemoryBound: 0
; FloatMode: 240
; IeeeMode: 1
; LDSByteSize: 32768 bytes/workgroup (compile time only)
; SGPRBlocks: 0
; VGPRBlocks: 5
; NumSGPRsForWavesPerEU: 29
; NumVGPRsForWavesPerEU: 43
; Occupancy: 16
; WaveLimiterHint : 0
; COMPUTE_PGM_RSRC2:SCRATCH_EN: 0
; COMPUTE_PGM_RSRC2:USER_SGPR: 6
; COMPUTE_PGM_RSRC2:TRAP_HANDLER: 0
; COMPUTE_PGM_RSRC2:TGID_X_EN: 1
; COMPUTE_PGM_RSRC2:TGID_Y_EN: 0
; COMPUTE_PGM_RSRC2:TGID_Z_EN: 0
; COMPUTE_PGM_RSRC2:TIDIG_COMP_CNT: 1
	.section	.text._ZN9rocsparseL14nnz_kernel_colILi256EllfEEv16rocsparse_order_T1_S2_PKT2_lPT0_,"axG",@progbits,_ZN9rocsparseL14nnz_kernel_colILi256EllfEEv16rocsparse_order_T1_S2_PKT2_lPT0_,comdat
	.globl	_ZN9rocsparseL14nnz_kernel_colILi256EllfEEv16rocsparse_order_T1_S2_PKT2_lPT0_ ; -- Begin function _ZN9rocsparseL14nnz_kernel_colILi256EllfEEv16rocsparse_order_T1_S2_PKT2_lPT0_
	.p2align	8
	.type	_ZN9rocsparseL14nnz_kernel_colILi256EllfEEv16rocsparse_order_T1_S2_PKT2_lPT0_,@function
_ZN9rocsparseL14nnz_kernel_colILi256EllfEEv16rocsparse_order_T1_S2_PKT2_lPT0_: ; @_ZN9rocsparseL14nnz_kernel_colILi256EllfEEv16rocsparse_order_T1_S2_PKT2_lPT0_
; %bb.0:
	s_clause 0x2
	s_load_dwordx2 s[8:9], s[4:5], 0x8
	s_load_dword s7, s[4:5], 0x0
	s_load_dwordx4 s[0:3], s[4:5], 0x18
	v_mov_b32_e32 v1, 0
	s_waitcnt lgkmcnt(0)
	s_ashr_i32 s10, s9, 31
	v_cmp_gt_i64_e64 s12, 0x100, s[8:9]
	s_lshr_b32 s10, s10, 24
	s_add_u32 s10, s8, s10
	s_addc_u32 s11, s9, 0
	s_and_b32 s10, s10, 0xffffff00
	s_cmp_eq_u32 s7, 1
	s_mov_b32 s7, 0
	s_cbranch_scc1 .LBB29_6
; %bb.1:
	v_mov_b32_e32 v2, 0
	v_mov_b32_e32 v3, 0
	s_and_b32 vcc_lo, exec_lo, s12
	s_cbranch_vccnz .LBB29_7
; %bb.2:
	v_mad_u64_u32 v[2:3], null, s2, v0, 0
	s_lshl_b64 s[12:13], s[6:7], 2
	s_mov_b64 s[14:15], 0
	s_add_u32 s12, s0, s12
	s_addc_u32 s13, s1, s13
	v_mad_u64_u32 v[3:4], null, s3, v0, v[3:4]
	v_lshlrev_b64 v[4:5], 2, v[2:3]
	v_mov_b32_e32 v2, 0
	v_mov_b32_e32 v3, 0
	v_add_co_u32 v4, vcc_lo, s12, v4
	v_add_co_ci_u32_e64 v5, null, s13, v5, vcc_lo
	s_lshl_b64 s[12:13], s[2:3], 10
	s_inst_prefetch 0x1
	s_branch .LBB29_4
	.p2align	6
.LBB29_3:                               ;   in Loop: Header=BB29_4 Depth=1
	s_or_b32 exec_lo, exec_lo, s16
	s_add_u32 s14, s14, 0x100
	s_addc_u32 s15, s15, 0
	v_add_co_u32 v4, vcc_lo, v4, s12
	v_cmp_ge_i64_e64 s16, s[14:15], s[10:11]
	v_add_co_ci_u32_e64 v5, null, s13, v5, vcc_lo
	s_and_b32 vcc_lo, exec_lo, s16
	s_cbranch_vccnz .LBB29_7
.LBB29_4:                               ; =>This Inner Loop Header: Depth=1
	v_add_co_u32 v6, s16, v0, s14
	v_add_co_ci_u32_e64 v7, null, 0, s15, s16
	s_mov_b32 s16, exec_lo
	v_cmpx_gt_i64_e64 s[8:9], v[6:7]
	s_cbranch_execz .LBB29_3
; %bb.5:                                ;   in Loop: Header=BB29_4 Depth=1
	global_load_dword v6, v[4:5], off
	s_waitcnt vmcnt(0)
	v_cmp_neq_f32_e32 vcc_lo, 0, v6
	v_cndmask_b32_e64 v6, 0, 1, vcc_lo
	v_add_co_u32 v2, vcc_lo, v2, v6
	v_add_co_ci_u32_e64 v3, null, 0, v3, vcc_lo
	s_branch .LBB29_3
.LBB29_6:
                                        ; implicit-def: $vgpr2_vgpr3
	s_load_dwordx2 s[4:5], s[4:5], 0x28
	s_cbranch_execnz .LBB29_10
	s_branch .LBB29_16
.LBB29_7:
	s_inst_prefetch 0x2
	v_add_co_u32 v4, s12, s10, v0
	v_add_co_ci_u32_e64 v5, null, s11, 0, s12
	s_mov_b32 s12, exec_lo
	v_cmpx_gt_i64_e64 s[8:9], v[4:5]
	s_cbranch_execz .LBB29_9
; %bb.8:
	v_mul_lo_u32 v6, v5, s2
	v_mul_lo_u32 v7, v4, s3
	v_mad_u64_u32 v[4:5], null, v4, s2, 0
	s_lshl_b64 s[14:15], s[6:7], 2
	v_add3_u32 v5, v5, v7, v6
	v_lshlrev_b64 v[4:5], 2, v[4:5]
	v_add_co_u32 v4, vcc_lo, s0, v4
	v_add_co_ci_u32_e64 v5, null, s1, v5, vcc_lo
	v_add_co_u32 v4, vcc_lo, v4, s14
	v_add_co_ci_u32_e64 v5, null, s15, v5, vcc_lo
	global_load_dword v4, v[4:5], off
	s_waitcnt vmcnt(0)
	v_cmp_neq_f32_e32 vcc_lo, 0, v4
	v_cndmask_b32_e64 v4, 0, 1, vcc_lo
	v_add_co_u32 v2, vcc_lo, v2, v4
	v_add_co_ci_u32_e64 v3, null, 0, v3, vcc_lo
.LBB29_9:
	s_or_b32 exec_lo, exec_lo, s12
	s_load_dwordx2 s[4:5], s[4:5], 0x28
	s_branch .LBB29_16
.LBB29_10:
	v_cmp_gt_i64_e32 vcc_lo, s[8:9], v[0:1]
	s_mul_i32 s3, s3, s6
	s_mul_hi_u32 s12, s2, s6
	s_mul_i32 s2, s2, s6
	s_add_i32 s3, s12, s3
	v_mov_b32_e32 v2, 0
	v_cndmask_b32_e32 v1, 0, v0, vcc_lo
	s_lshl_b64 s[2:3], s[2:3], 2
	v_mov_b32_e32 v3, 0
	s_add_u32 s0, s0, s2
	v_cmp_gt_i64_e64 s2, 0x100, s[8:9]
	v_lshlrev_b32_e32 v1, 2, v1
	s_addc_u32 s1, s1, s3
	s_and_b32 vcc_lo, exec_lo, s2
	v_add_co_u32 v4, s0, s0, v1
	v_add_co_ci_u32_e64 v5, null, s1, 0, s0
	s_cbranch_vccnz .LBB29_13
; %bb.11:
	v_mov_b32_e32 v2, 0
	v_mov_b32_e32 v7, v5
	;; [unrolled: 1-line block ×4, first 2 shown]
	s_mov_b64 s[2:3], 0
	.p2align	6
.LBB29_12:                              ; =>This Inner Loop Header: Depth=1
	global_load_dword v1, v[6:7], off
	v_add_co_u32 v6, vcc_lo, 0x400, v6
	v_add_co_ci_u32_e64 v7, null, 0, v7, vcc_lo
	s_add_u32 s2, s2, 0x100
	s_addc_u32 s3, s3, 0
	v_cmp_ge_i64_e64 s0, s[2:3], s[10:11]
	s_waitcnt vmcnt(0)
	v_cmp_neq_f32_e32 vcc_lo, 0, v1
	v_cndmask_b32_e64 v1, 0, 1, vcc_lo
	s_and_b32 vcc_lo, exec_lo, s0
	v_add_co_u32 v2, s0, v2, v1
	v_add_co_ci_u32_e64 v3, null, 0, v3, s0
	s_cbranch_vccz .LBB29_12
.LBB29_13:
	v_add_co_u32 v6, s0, s10, v0
	v_add_co_ci_u32_e64 v7, null, s11, 0, s0
	s_mov_b32 s0, exec_lo
	v_cmpx_gt_i64_e64 s[8:9], v[6:7]
	s_cbranch_execz .LBB29_15
; %bb.14:
	s_lshl_b64 s[2:3], s[10:11], 2
	v_add_co_u32 v4, vcc_lo, v4, s2
	v_add_co_ci_u32_e64 v5, null, s3, v5, vcc_lo
	global_load_dword v1, v[4:5], off
	s_waitcnt vmcnt(0)
	v_cmp_neq_f32_e32 vcc_lo, 0, v1
	v_cndmask_b32_e64 v1, 0, 1, vcc_lo
	v_add_co_u32 v2, vcc_lo, v2, v1
	v_add_co_ci_u32_e64 v3, null, 0, v3, vcc_lo
.LBB29_15:
	s_or_b32 exec_lo, exec_lo, s0
.LBB29_16:
	v_cmp_gt_i64_e64 s0, 0x100, s[8:9]
	v_lshlrev_b32_e32 v4, 3, v0
	s_mov_b32 s1, -1
	ds_write_b64 v4, v[2:3]
	s_and_b32 vcc_lo, exec_lo, s0
	v_cmp_eq_u32_e64 s0, 0, v0
	s_waitcnt lgkmcnt(0)
	s_cbranch_vccz .LBB29_26
; %bb.17:
	v_cmp_gt_i64_e64 s1, s[8:9], 1
	s_mov_b64 s[2:3], 1
	s_barrier
	buffer_gl0_inv
	s_and_b32 s0, s0, s1
	s_and_saveexec_b32 s3, s0
	s_cbranch_execz .LBB29_25
; %bb.18:
	v_mov_b32_e32 v1, 0
	s_add_u32 s10, s8, -1
	s_addc_u32 s1, s9, -1
	s_add_u32 s8, s8, -2
	s_addc_u32 s9, s9, -1
	ds_read_b64 v[1:2], v1
	v_cmp_lt_u64_e64 s0, s[8:9], 7
	s_and_b32 vcc_lo, exec_lo, s0
	s_cbranch_vccnz .LBB29_21
; %bb.19:
	s_and_b32 s0, s10, -8
	s_mov_b64 s[8:9], 0
	s_mov_b32 s11, 8
	s_inst_prefetch 0x1
	.p2align	6
.LBB29_20:                              ; =>This Inner Loop Header: Depth=1
	v_mov_b32_e32 v3, s11
	s_add_u32 s12, s8, 8
	s_addc_u32 s13, s9, 0
	s_add_i32 s11, s11, 64
	s_add_u32 s2, s8, 9
	ds_read2_b64 v[5:8], v3 offset1:1
	ds_read2_b64 v[9:12], v3 offset0:2 offset1:3
	ds_read2_b64 v[13:16], v3 offset0:4 offset1:5
	s_cmp_lg_u64 s[0:1], s[12:13]
	s_mov_b64 s[8:9], s[12:13]
	s_waitcnt lgkmcnt(2)
	v_add_co_u32 v1, vcc_lo, v1, v5
	v_add_co_ci_u32_e64 v2, null, v2, v6, vcc_lo
	v_add_co_u32 v1, vcc_lo, v1, v7
	v_add_co_ci_u32_e64 v2, null, v2, v8, vcc_lo
	ds_read2_b64 v[5:8], v3 offset0:6 offset1:7
	s_waitcnt lgkmcnt(2)
	v_add_co_u32 v1, vcc_lo, v1, v9
	v_add_co_ci_u32_e64 v2, null, v2, v10, vcc_lo
	v_add_co_u32 v1, vcc_lo, v1, v11
	v_add_co_ci_u32_e64 v2, null, v2, v12, vcc_lo
	s_waitcnt lgkmcnt(1)
	v_add_co_u32 v1, vcc_lo, v1, v13
	v_add_co_ci_u32_e64 v2, null, v2, v14, vcc_lo
	v_add_co_u32 v1, vcc_lo, v1, v15
	v_add_co_ci_u32_e64 v2, null, v2, v16, vcc_lo
	;; [unrolled: 5-line block ×3, first 2 shown]
	s_cbranch_scc1 .LBB29_20
.LBB29_21:
	s_inst_prefetch 0x2
	s_and_b32 s0, s10, 7
	s_mov_b32 s1, 0
	s_cmp_eq_u64 s[0:1], 0
	s_cbranch_scc1 .LBB29_24
; %bb.22:
	s_lshl_b32 s2, s2, 3
.LBB29_23:                              ; =>This Inner Loop Header: Depth=1
	v_mov_b32_e32 v3, s2
	s_add_i32 s2, s2, 8
	s_add_u32 s0, s0, -1
	s_addc_u32 s1, s1, -1
	s_cmp_lg_u64 s[0:1], 0
	ds_read_b64 v[5:6], v3
	s_waitcnt lgkmcnt(0)
	v_add_co_u32 v1, vcc_lo, v1, v5
	v_add_co_ci_u32_e64 v2, null, v2, v6, vcc_lo
	s_cbranch_scc1 .LBB29_23
.LBB29_24:
	v_mov_b32_e32 v3, 0
	s_waitcnt lgkmcnt(0)
	ds_write_b64 v3, v[1:2]
.LBB29_25:
	s_or_b32 exec_lo, exec_lo, s3
	s_mov_b32 s1, 0
	s_waitcnt lgkmcnt(0)
	s_barrier
.LBB29_26:
	s_and_b32 vcc_lo, exec_lo, s1
	s_cbranch_vccz .LBB29_44
; %bb.27:
	s_mov_b32 s0, exec_lo
	s_barrier
	buffer_gl0_inv
	v_cmpx_gt_u32_e32 0x80, v0
	s_cbranch_execz .LBB29_29
; %bb.28:
	ds_read2st64_b64 v[5:8], v4 offset1:2
	s_waitcnt lgkmcnt(0)
	v_add_co_u32 v1, vcc_lo, v5, v7
	v_add_co_ci_u32_e64 v2, null, v6, v8, vcc_lo
	ds_write_b64 v4, v[1:2]
.LBB29_29:
	s_or_b32 exec_lo, exec_lo, s0
	s_mov_b32 s0, exec_lo
	s_waitcnt lgkmcnt(0)
	s_barrier
	buffer_gl0_inv
	v_cmpx_gt_u32_e32 64, v0
	s_cbranch_execz .LBB29_31
; %bb.30:
	ds_read2st64_b64 v[5:8], v4 offset1:1
	s_waitcnt lgkmcnt(0)
	v_add_co_u32 v1, vcc_lo, v5, v7
	v_add_co_ci_u32_e64 v2, null, v6, v8, vcc_lo
	ds_write_b64 v4, v[1:2]
.LBB29_31:
	s_or_b32 exec_lo, exec_lo, s0
	s_mov_b32 s0, exec_lo
	s_waitcnt lgkmcnt(0)
	s_barrier
	buffer_gl0_inv
	v_cmpx_gt_u32_e32 32, v0
	s_cbranch_execz .LBB29_33
; %bb.32:
	ds_read2_b64 v[5:8], v4 offset1:32
	s_waitcnt lgkmcnt(0)
	v_add_co_u32 v1, vcc_lo, v5, v7
	v_add_co_ci_u32_e64 v2, null, v6, v8, vcc_lo
	ds_write_b64 v4, v[1:2]
.LBB29_33:
	s_or_b32 exec_lo, exec_lo, s0
	s_mov_b32 s0, exec_lo
	s_waitcnt lgkmcnt(0)
	s_barrier
	buffer_gl0_inv
	v_cmpx_gt_u32_e32 16, v0
	s_cbranch_execz .LBB29_35
; %bb.34:
	ds_read2_b64 v[5:8], v4 offset1:16
	s_waitcnt lgkmcnt(0)
	v_add_co_u32 v1, vcc_lo, v5, v7
	v_add_co_ci_u32_e64 v2, null, v6, v8, vcc_lo
	ds_write_b64 v4, v[1:2]
.LBB29_35:
	;; [unrolled: 14-line block ×5, first 2 shown]
	s_or_b32 exec_lo, exec_lo, s0
	s_mov_b32 s0, exec_lo
	s_waitcnt lgkmcnt(0)
	s_barrier
	buffer_gl0_inv
	v_cmpx_eq_u32_e32 0, v0
	s_cbranch_execz .LBB29_43
; %bb.42:
	v_mov_b32_e32 v5, 0
	ds_read_b128 v[1:4], v5
	s_waitcnt lgkmcnt(0)
	v_add_co_u32 v1, vcc_lo, v1, v3
	v_add_co_ci_u32_e64 v2, null, v2, v4, vcc_lo
	ds_write_b64 v5, v[1:2]
.LBB29_43:
	s_or_b32 exec_lo, exec_lo, s0
	s_waitcnt lgkmcnt(0)
	s_barrier
.LBB29_44:
	buffer_gl0_inv
	s_mov_b32 s0, exec_lo
	v_cmpx_eq_u32_e32 0, v0
	s_cbranch_execz .LBB29_46
; %bb.45:
	v_mov_b32_e32 v2, 0
	s_lshl_b64 s[0:1], s[6:7], 3
	s_add_u32 s0, s4, s0
	s_addc_u32 s1, s5, s1
	ds_read_b64 v[0:1], v2
	s_waitcnt lgkmcnt(0)
	global_store_dwordx2 v2, v[0:1], s[0:1]
.LBB29_46:
	s_endpgm
	.section	.rodata,"a",@progbits
	.p2align	6, 0x0
	.amdhsa_kernel _ZN9rocsparseL14nnz_kernel_colILi256EllfEEv16rocsparse_order_T1_S2_PKT2_lPT0_
		.amdhsa_group_segment_fixed_size 2048
		.amdhsa_private_segment_fixed_size 0
		.amdhsa_kernarg_size 48
		.amdhsa_user_sgpr_count 6
		.amdhsa_user_sgpr_private_segment_buffer 1
		.amdhsa_user_sgpr_dispatch_ptr 0
		.amdhsa_user_sgpr_queue_ptr 0
		.amdhsa_user_sgpr_kernarg_segment_ptr 1
		.amdhsa_user_sgpr_dispatch_id 0
		.amdhsa_user_sgpr_flat_scratch_init 0
		.amdhsa_user_sgpr_private_segment_size 0
		.amdhsa_wavefront_size32 1
		.amdhsa_uses_dynamic_stack 0
		.amdhsa_system_sgpr_private_segment_wavefront_offset 0
		.amdhsa_system_sgpr_workgroup_id_x 1
		.amdhsa_system_sgpr_workgroup_id_y 0
		.amdhsa_system_sgpr_workgroup_id_z 0
		.amdhsa_system_sgpr_workgroup_info 0
		.amdhsa_system_vgpr_workitem_id 0
		.amdhsa_next_free_vgpr 17
		.amdhsa_next_free_sgpr 17
		.amdhsa_reserve_vcc 1
		.amdhsa_reserve_flat_scratch 0
		.amdhsa_float_round_mode_32 0
		.amdhsa_float_round_mode_16_64 0
		.amdhsa_float_denorm_mode_32 3
		.amdhsa_float_denorm_mode_16_64 3
		.amdhsa_dx10_clamp 1
		.amdhsa_ieee_mode 1
		.amdhsa_fp16_overflow 0
		.amdhsa_workgroup_processor_mode 1
		.amdhsa_memory_ordered 1
		.amdhsa_forward_progress 1
		.amdhsa_shared_vgpr_count 0
		.amdhsa_exception_fp_ieee_invalid_op 0
		.amdhsa_exception_fp_denorm_src 0
		.amdhsa_exception_fp_ieee_div_zero 0
		.amdhsa_exception_fp_ieee_overflow 0
		.amdhsa_exception_fp_ieee_underflow 0
		.amdhsa_exception_fp_ieee_inexact 0
		.amdhsa_exception_int_div_zero 0
	.end_amdhsa_kernel
	.section	.text._ZN9rocsparseL14nnz_kernel_colILi256EllfEEv16rocsparse_order_T1_S2_PKT2_lPT0_,"axG",@progbits,_ZN9rocsparseL14nnz_kernel_colILi256EllfEEv16rocsparse_order_T1_S2_PKT2_lPT0_,comdat
.Lfunc_end29:
	.size	_ZN9rocsparseL14nnz_kernel_colILi256EllfEEv16rocsparse_order_T1_S2_PKT2_lPT0_, .Lfunc_end29-_ZN9rocsparseL14nnz_kernel_colILi256EllfEEv16rocsparse_order_T1_S2_PKT2_lPT0_
                                        ; -- End function
	.set _ZN9rocsparseL14nnz_kernel_colILi256EllfEEv16rocsparse_order_T1_S2_PKT2_lPT0_.num_vgpr, 17
	.set _ZN9rocsparseL14nnz_kernel_colILi256EllfEEv16rocsparse_order_T1_S2_PKT2_lPT0_.num_agpr, 0
	.set _ZN9rocsparseL14nnz_kernel_colILi256EllfEEv16rocsparse_order_T1_S2_PKT2_lPT0_.numbered_sgpr, 17
	.set _ZN9rocsparseL14nnz_kernel_colILi256EllfEEv16rocsparse_order_T1_S2_PKT2_lPT0_.num_named_barrier, 0
	.set _ZN9rocsparseL14nnz_kernel_colILi256EllfEEv16rocsparse_order_T1_S2_PKT2_lPT0_.private_seg_size, 0
	.set _ZN9rocsparseL14nnz_kernel_colILi256EllfEEv16rocsparse_order_T1_S2_PKT2_lPT0_.uses_vcc, 1
	.set _ZN9rocsparseL14nnz_kernel_colILi256EllfEEv16rocsparse_order_T1_S2_PKT2_lPT0_.uses_flat_scratch, 0
	.set _ZN9rocsparseL14nnz_kernel_colILi256EllfEEv16rocsparse_order_T1_S2_PKT2_lPT0_.has_dyn_sized_stack, 0
	.set _ZN9rocsparseL14nnz_kernel_colILi256EllfEEv16rocsparse_order_T1_S2_PKT2_lPT0_.has_recursion, 0
	.set _ZN9rocsparseL14nnz_kernel_colILi256EllfEEv16rocsparse_order_T1_S2_PKT2_lPT0_.has_indirect_call, 0
	.section	.AMDGPU.csdata,"",@progbits
; Kernel info:
; codeLenInByte = 1964
; TotalNumSgprs: 19
; NumVgprs: 17
; ScratchSize: 0
; MemoryBound: 0
; FloatMode: 240
; IeeeMode: 1
; LDSByteSize: 2048 bytes/workgroup (compile time only)
; SGPRBlocks: 0
; VGPRBlocks: 2
; NumSGPRsForWavesPerEU: 19
; NumVGPRsForWavesPerEU: 17
; Occupancy: 16
; WaveLimiterHint : 0
; COMPUTE_PGM_RSRC2:SCRATCH_EN: 0
; COMPUTE_PGM_RSRC2:USER_SGPR: 6
; COMPUTE_PGM_RSRC2:TRAP_HANDLER: 0
; COMPUTE_PGM_RSRC2:TGID_X_EN: 1
; COMPUTE_PGM_RSRC2:TGID_Y_EN: 0
; COMPUTE_PGM_RSRC2:TGID_Z_EN: 0
; COMPUTE_PGM_RSRC2:TIDIG_COMP_CNT: 0
	.section	.text._ZN9rocsparseL14nnz_kernel_rowILi64ELi16ElldEEv16rocsparse_order_T2_S2_PKT3_lPT1_,"axG",@progbits,_ZN9rocsparseL14nnz_kernel_rowILi64ELi16ElldEEv16rocsparse_order_T2_S2_PKT3_lPT1_,comdat
	.globl	_ZN9rocsparseL14nnz_kernel_rowILi64ELi16ElldEEv16rocsparse_order_T2_S2_PKT3_lPT1_ ; -- Begin function _ZN9rocsparseL14nnz_kernel_rowILi64ELi16ElldEEv16rocsparse_order_T2_S2_PKT3_lPT1_
	.p2align	8
	.type	_ZN9rocsparseL14nnz_kernel_rowILi64ELi16ElldEEv16rocsparse_order_T2_S2_PKT3_lPT1_,@function
_ZN9rocsparseL14nnz_kernel_rowILi64ELi16ElldEEv16rocsparse_order_T2_S2_PKT3_lPT1_: ; @_ZN9rocsparseL14nnz_kernel_rowILi64ELi16ElldEEv16rocsparse_order_T2_S2_PKT3_lPT1_
; %bb.0:
	s_clause 0x3
	s_load_dword s0, s[4:5], 0x3c
	s_load_dwordx8 s[8:15], s[4:5], 0x8
	s_load_dwordx2 s[16:17], s[4:5], 0x28
	s_load_dword s22, s[4:5], 0x0
	s_lshl_b32 s5, s6, 8
	v_mov_b32_e32 v21, 0
	s_mov_b32 s24, 0
	s_mov_b32 s23, exec_lo
	v_mov_b32_e32 v19, v21
	v_mov_b32_e32 v2, v21
	;; [unrolled: 1-line block ×9, first 2 shown]
	s_waitcnt lgkmcnt(0)
	s_and_b32 s0, s0, 0xffff
	v_mad_u32_u24 v32, v1, s0, v0
	s_ashr_i32 s0, s11, 31
	s_lshr_b32 s0, s0, 26
	s_add_u32 s0, s10, s0
	v_and_b32_e32 v33, 63, v32
	v_lshrrev_b32_e32 v0, 4, v32
	s_addc_u32 s19, s11, 0
	s_and_b32 s18, s0, 0xffffffc0
	v_or_b32_e32 v20, s5, v33
	v_and_b32_e32 v18, 0x7ffffc, v0
	s_sub_u32 s6, s10, s18
	s_subb_u32 s7, s11, s19
	v_or_b32_e32 v24, 64, v20
	v_or_b32_e32 v22, 0x80, v20
	;; [unrolled: 1-line block ×3, first 2 shown]
	v_cmpx_gt_i64_e64 s[18:19], v[18:19]
	s_cbranch_execz .LBB30_28
; %bb.1:
	v_add_co_u32 v2, s0, s5, v33
	v_add_co_ci_u32_e64 v3, null, 0, 0, s0
	v_mov_b32_e32 v1, v21
	v_mul_lo_u32 v6, s15, v2
	v_mad_u64_u32 v[4:5], null, s14, v2, 0
	v_mul_lo_u32 v7, s14, v3
	v_add_co_u32 v8, vcc_lo, v2, 64
	v_add_co_ci_u32_e64 v9, null, 0, v3, vcc_lo
	v_lshrrev_b32_e32 v14, 6, v32
	v_cmp_gt_i64_e64 s3, s[8:9], v[0:1]
	v_mul_lo_u32 v1, s15, v8
	v_add3_u32 v5, v5, v7, v6
	v_mul_lo_u32 v9, s14, v9
	v_mad_u64_u32 v[6:7], null, s14, v8, 0
	v_add_co_u32 v8, vcc_lo, 0x80, v2
	v_lshlrev_b64 v[4:5], 3, v[4:5]
	v_mov_b32_e32 v23, v21
	v_lshlrev_b32_e32 v16, 5, v14
	v_add_co_ci_u32_e64 v10, null, 0, v3, vcc_lo
	v_add3_u32 v7, v7, v9, v1
	v_cmp_gt_i64_e64 s2, s[8:9], v[22:23]
	v_add_co_u32 v23, vcc_lo, v4, v16
	v_mul_lo_u32 v1, s15, v8
	v_mul_lo_u32 v10, s14, v10
	v_mad_u64_u32 v[8:9], null, s14, v8, 0
	v_add_co_ci_u32_e64 v29, null, 0, v5, vcc_lo
	v_add_co_u32 v11, vcc_lo, 0xc0, v2
	v_mov_b32_e32 v25, v21
	v_add_co_ci_u32_e64 v12, null, 0, v3, vcc_lo
	v_add3_u32 v9, v9, v10, v1
	v_mul_lo_u32 v15, s15, v11
	v_cmp_gt_i64_e64 s1, s[8:9], v[24:25]
	v_mul_lo_u32 v25, s14, v12
	v_mad_u64_u32 v[10:11], null, s14, v11, 0
	v_lshlrev_b64 v[4:5], 3, v[6:7]
	v_mad_u64_u32 v[12:13], null, s14, v14, 0
	v_lshlrev_b64 v[6:7], 3, v[2:3]
	v_or_b32_e32 v17, 24, v16
	v_or_b32_e32 v36, 8, v16
	v_add_co_u32 v30, vcc_lo, v4, v16
	v_lshlrev_b64 v[3:4], 3, v[8:9]
	v_add3_u32 v11, v11, v25, v15
	v_or_b32_e32 v15, 16, v16
	v_add_co_ci_u32_e64 v31, null, 0, v5, vcc_lo
	v_mov_b32_e32 v5, v13
	v_mad_u64_u32 v[1:2], null, s14, v17, v[6:7]
	v_mad_u64_u32 v[25:26], null, s14, v15, v[6:7]
	;; [unrolled: 1-line block ×4, first 2 shown]
	v_add_co_u32 v34, vcc_lo, v3, v16
	v_add_co_ci_u32_e64 v35, null, 0, v4, vcc_lo
	v_lshlrev_b64 v[3:4], 3, v[10:11]
	v_mov_b32_e32 v5, v26
	v_mov_b32_e32 v13, v8
	v_cmp_gt_i64_e64 s0, s[8:9], v[20:21]
	v_mov_b32_e32 v8, v21
	s_cmp_lg_u32 s22, 1
	v_mad_u64_u32 v[9:10], null, s15, v17, v[2:3]
	v_mov_b32_e32 v2, v28
	v_mad_u64_u32 v[10:11], null, s15, v15, v[5:6]
	v_lshlrev_b64 v[11:12], 5, v[12:13]
	v_add_co_u32 v26, vcc_lo, v3, v16
	v_mad_u64_u32 v[14:15], null, s15, v36, v[2:3]
	v_add_co_ci_u32_e64 v28, null, 0, v4, vcc_lo
	v_add_co_u32 v39, vcc_lo, v11, v6
	v_mov_b32_e32 v36, v9
	v_mov_b32_e32 v37, v10
	;; [unrolled: 1-line block ×3, first 2 shown]
	v_add_co_ci_u32_e64 v40, null, v12, v7, vcc_lo
	v_mov_b32_e32 v2, v21
	v_mov_b32_e32 v3, v21
	;; [unrolled: 1-line block ×7, first 2 shown]
	s_cselect_b32 s25, -1, 0
	s_lshl_b64 s[20:21], s[14:15], 9
	s_branch .LBB30_4
.LBB30_2:                               ;   in Loop: Header=BB30_4 Depth=1
	v_mov_b32_e32 v2, v10
	v_mov_b32_e32 v3, v11
	;; [unrolled: 1-line block ×8, first 2 shown]
.LBB30_3:                               ;   in Loop: Header=BB30_4 Depth=1
	s_or_b32 exec_lo, exec_lo, s4
	v_add_co_u32 v18, vcc_lo, v18, 64
	v_add_co_ci_u32_e64 v19, null, 0, v19, vcc_lo
	v_add_co_u32 v23, vcc_lo, 0x200, v23
	v_add_co_ci_u32_e64 v29, null, 0, v29, vcc_lo
	;; [unrolled: 2-line block ×8, first 2 shown]
	v_cmp_le_i64_e32 vcc_lo, s[18:19], v[18:19]
	v_add_co_u32 v39, s4, v39, s20
	v_add_co_ci_u32_e64 v40, null, s21, v40, s4
	s_or_b32 s24, vcc_lo, s24
	s_andn2_b32 exec_lo, exec_lo, s24
	s_cbranch_execz .LBB30_27
.LBB30_4:                               ; =>This Inner Loop Header: Depth=1
	s_and_saveexec_b32 s4, s0
	s_cbranch_execnz .LBB30_8
; %bb.5:                                ;   in Loop: Header=BB30_4 Depth=1
	s_or_b32 exec_lo, exec_lo, s4
	s_and_saveexec_b32 s4, s1
	s_cbranch_execnz .LBB30_13
.LBB30_6:                               ;   in Loop: Header=BB30_4 Depth=1
	s_or_b32 exec_lo, exec_lo, s4
	s_and_saveexec_b32 s4, s2
	s_cbranch_execnz .LBB30_18
.LBB30_7:                               ;   in Loop: Header=BB30_4 Depth=1
	s_or_b32 exec_lo, exec_lo, s4
	s_and_saveexec_b32 s4, s3
	s_cbranch_execz .LBB30_3
	s_branch .LBB30_23
.LBB30_8:                               ;   in Loop: Header=BB30_4 Depth=1
	s_andn2_b32 vcc_lo, exec_lo, s25
	s_mov_b32 s26, -1
                                        ; implicit-def: $vgpr10_vgpr11_vgpr12_vgpr13_vgpr14_vgpr15_vgpr16_vgpr17
	s_cbranch_vccnz .LBB30_10
; %bb.9:                                ;   in Loop: Header=BB30_4 Depth=1
	v_add_co_u32 v14, vcc_lo, s12, v23
	v_add_co_ci_u32_e64 v15, null, s13, v29, vcc_lo
	v_add_co_u32 v41, vcc_lo, v2, 1
	v_add_co_ci_u32_e64 v42, null, 0, v3, vcc_lo
	s_clause 0x1
	global_load_dwordx4 v[10:13], v[14:15], off
	global_load_dwordx4 v[14:17], v[14:15], off offset:16
	s_mov_b32 s26, 0
	s_waitcnt vmcnt(1)
	v_cmp_neq_f64_e32 vcc_lo, 0, v[10:11]
	v_cndmask_b32_e32 v11, v2, v41, vcc_lo
	v_cndmask_b32_e32 v10, v3, v42, vcc_lo
	v_add_co_u32 v41, vcc_lo, v11, 1
	v_add_co_ci_u32_e64 v42, null, 0, v10, vcc_lo
	v_cmp_neq_f64_e32 vcc_lo, 0, v[12:13]
	v_cndmask_b32_e32 v11, v11, v41, vcc_lo
	v_cndmask_b32_e32 v10, v10, v42, vcc_lo
	v_add_co_u32 v12, vcc_lo, v11, 1
	v_add_co_ci_u32_e64 v13, null, 0, v10, vcc_lo
	s_waitcnt vmcnt(0)
	v_cmp_neq_f64_e32 vcc_lo, 0, v[14:15]
	v_mov_b32_e32 v14, v6
	v_mov_b32_e32 v15, v7
	v_cndmask_b32_e32 v41, v11, v12, vcc_lo
	v_cndmask_b32_e32 v10, v10, v13, vcc_lo
	v_mov_b32_e32 v12, v4
	v_mov_b32_e32 v13, v5
	v_add_co_u32 v42, vcc_lo, v41, 1
	v_add_co_ci_u32_e64 v11, null, 0, v10, vcc_lo
	v_cmp_neq_f64_e32 vcc_lo, 0, v[16:17]
	v_mov_b32_e32 v16, v8
	v_mov_b32_e32 v17, v9
	v_cndmask_b32_e32 v11, v10, v11, vcc_lo
	v_cndmask_b32_e32 v10, v41, v42, vcc_lo
.LBB30_10:                              ;   in Loop: Header=BB30_4 Depth=1
	s_andn2_b32 vcc_lo, exec_lo, s26
	s_cbranch_vccnz .LBB30_12
; %bb.11:                               ;   in Loop: Header=BB30_4 Depth=1
	v_add_co_u32 v10, vcc_lo, s12, v39
	v_add_co_ci_u32_e64 v11, null, s13, v40, vcc_lo
	v_add_co_u32 v12, vcc_lo, s12, v27
	v_add_co_ci_u32_e64 v13, null, s13, v38, vcc_lo
	global_load_dwordx2 v[10:11], v[10:11], off
	v_add_co_u32 v14, vcc_lo, s12, v25
	global_load_dwordx2 v[12:13], v[12:13], off
	v_add_co_ci_u32_e64 v15, null, s13, v37, vcc_lo
	v_add_co_u32 v16, vcc_lo, s12, v1
	v_add_co_ci_u32_e64 v17, null, s13, v36, vcc_lo
	global_load_dwordx2 v[14:15], v[14:15], off
	v_add_co_u32 v41, vcc_lo, v2, 1
	global_load_dwordx2 v[16:17], v[16:17], off
	v_add_co_ci_u32_e64 v42, null, 0, v3, vcc_lo
	s_waitcnt vmcnt(3)
	v_cmp_neq_f64_e32 vcc_lo, 0, v[10:11]
	v_cndmask_b32_e32 v2, v2, v41, vcc_lo
	v_cndmask_b32_e32 v3, v3, v42, vcc_lo
	v_add_co_u32 v10, vcc_lo, v2, 1
	v_add_co_ci_u32_e64 v11, null, 0, v3, vcc_lo
	s_waitcnt vmcnt(2)
	v_cmp_neq_f64_e32 vcc_lo, 0, v[12:13]
	v_cndmask_b32_e32 v2, v2, v10, vcc_lo
	v_cndmask_b32_e32 v3, v3, v11, vcc_lo
	v_add_co_u32 v10, vcc_lo, v2, 1
	v_add_co_ci_u32_e64 v11, null, 0, v3, vcc_lo
	s_waitcnt vmcnt(1)
	v_cmp_neq_f64_e32 vcc_lo, 0, v[14:15]
	v_cndmask_b32_e32 v2, v2, v10, vcc_lo
	v_cndmask_b32_e32 v3, v3, v11, vcc_lo
	v_add_co_u32 v10, vcc_lo, v2, 1
	v_add_co_ci_u32_e64 v11, null, 0, v3, vcc_lo
	s_waitcnt vmcnt(0)
	v_cmp_neq_f64_e32 vcc_lo, 0, v[16:17]
	v_cndmask_b32_e32 v3, v3, v11, vcc_lo
	v_cndmask_b32_e32 v2, v2, v10, vcc_lo
	v_mov_b32_e32 v17, v9
	v_mov_b32_e32 v16, v8
	;; [unrolled: 1-line block ×8, first 2 shown]
.LBB30_12:                              ;   in Loop: Header=BB30_4 Depth=1
	v_mov_b32_e32 v2, v10
	v_mov_b32_e32 v3, v11
	;; [unrolled: 1-line block ×8, first 2 shown]
	s_or_b32 exec_lo, exec_lo, s4
	s_and_saveexec_b32 s4, s1
	s_cbranch_execz .LBB30_6
.LBB30_13:                              ;   in Loop: Header=BB30_4 Depth=1
	s_andn2_b32 vcc_lo, exec_lo, s25
	s_mov_b32 s26, -1
                                        ; implicit-def: $vgpr10_vgpr11_vgpr12_vgpr13_vgpr14_vgpr15_vgpr16_vgpr17
	s_cbranch_vccnz .LBB30_15
; %bb.14:                               ;   in Loop: Header=BB30_4 Depth=1
	v_add_co_u32 v14, vcc_lo, s12, v30
	v_add_co_ci_u32_e64 v15, null, s13, v31, vcc_lo
	v_add_co_u32 v41, vcc_lo, v4, 1
	v_add_co_ci_u32_e64 v42, null, 0, v5, vcc_lo
	s_clause 0x1
	global_load_dwordx4 v[10:13], v[14:15], off
	global_load_dwordx4 v[14:17], v[14:15], off offset:16
	s_mov_b32 s26, 0
	s_waitcnt vmcnt(1)
	v_cmp_neq_f64_e32 vcc_lo, 0, v[10:11]
	v_cndmask_b32_e32 v11, v4, v41, vcc_lo
	v_cndmask_b32_e32 v10, v5, v42, vcc_lo
	v_add_co_u32 v41, vcc_lo, v11, 1
	v_add_co_ci_u32_e64 v42, null, 0, v10, vcc_lo
	v_cmp_neq_f64_e32 vcc_lo, 0, v[12:13]
	v_cndmask_b32_e32 v11, v11, v41, vcc_lo
	v_cndmask_b32_e32 v10, v10, v42, vcc_lo
	v_add_co_u32 v12, vcc_lo, v11, 1
	v_add_co_ci_u32_e64 v13, null, 0, v10, vcc_lo
	s_waitcnt vmcnt(0)
	v_cmp_neq_f64_e32 vcc_lo, 0, v[14:15]
	v_mov_b32_e32 v14, v6
	v_mov_b32_e32 v15, v7
	v_cndmask_b32_e32 v12, v11, v12, vcc_lo
	v_cndmask_b32_e32 v13, v10, v13, vcc_lo
	v_mov_b32_e32 v10, v2
	v_mov_b32_e32 v11, v3
	v_add_co_u32 v41, vcc_lo, v12, 1
	v_add_co_ci_u32_e64 v42, null, 0, v13, vcc_lo
	v_cmp_neq_f64_e32 vcc_lo, 0, v[16:17]
	v_mov_b32_e32 v16, v8
	v_mov_b32_e32 v17, v9
	v_cndmask_b32_e32 v13, v13, v42, vcc_lo
	v_cndmask_b32_e32 v12, v12, v41, vcc_lo
.LBB30_15:                              ;   in Loop: Header=BB30_4 Depth=1
	s_andn2_b32 vcc_lo, exec_lo, s26
	s_cbranch_vccnz .LBB30_17
; %bb.16:                               ;   in Loop: Header=BB30_4 Depth=1
	v_add_co_u32 v10, vcc_lo, s12, v39
	v_add_co_ci_u32_e64 v11, null, s13, v40, vcc_lo
	v_add_co_u32 v12, vcc_lo, s12, v27
	v_add_co_ci_u32_e64 v13, null, s13, v38, vcc_lo
	global_load_dwordx2 v[10:11], v[10:11], off offset:512
	v_add_co_u32 v14, vcc_lo, s12, v25
	global_load_dwordx2 v[12:13], v[12:13], off offset:512
	v_add_co_ci_u32_e64 v15, null, s13, v37, vcc_lo
	v_add_co_u32 v16, vcc_lo, s12, v1
	v_add_co_ci_u32_e64 v17, null, s13, v36, vcc_lo
	global_load_dwordx2 v[14:15], v[14:15], off offset:512
	v_add_co_u32 v41, vcc_lo, v4, 1
	global_load_dwordx2 v[16:17], v[16:17], off offset:512
	v_add_co_ci_u32_e64 v42, null, 0, v5, vcc_lo
	s_waitcnt vmcnt(3)
	v_cmp_neq_f64_e32 vcc_lo, 0, v[10:11]
	v_cndmask_b32_e32 v4, v4, v41, vcc_lo
	v_cndmask_b32_e32 v5, v5, v42, vcc_lo
	v_add_co_u32 v10, vcc_lo, v4, 1
	v_add_co_ci_u32_e64 v11, null, 0, v5, vcc_lo
	s_waitcnt vmcnt(2)
	v_cmp_neq_f64_e32 vcc_lo, 0, v[12:13]
	v_cndmask_b32_e32 v4, v4, v10, vcc_lo
	v_cndmask_b32_e32 v5, v5, v11, vcc_lo
	v_add_co_u32 v10, vcc_lo, v4, 1
	;; [unrolled: 6-line block ×3, first 2 shown]
	v_add_co_ci_u32_e64 v11, null, 0, v5, vcc_lo
	s_waitcnt vmcnt(0)
	v_cmp_neq_f64_e32 vcc_lo, 0, v[16:17]
	v_cndmask_b32_e32 v5, v5, v11, vcc_lo
	v_cndmask_b32_e32 v4, v4, v10, vcc_lo
	v_mov_b32_e32 v17, v9
	v_mov_b32_e32 v16, v8
	;; [unrolled: 1-line block ×8, first 2 shown]
.LBB30_17:                              ;   in Loop: Header=BB30_4 Depth=1
	v_mov_b32_e32 v2, v10
	v_mov_b32_e32 v3, v11
	;; [unrolled: 1-line block ×8, first 2 shown]
	s_or_b32 exec_lo, exec_lo, s4
	s_and_saveexec_b32 s4, s2
	s_cbranch_execz .LBB30_7
.LBB30_18:                              ;   in Loop: Header=BB30_4 Depth=1
	s_andn2_b32 vcc_lo, exec_lo, s25
	s_mov_b32 s26, -1
                                        ; implicit-def: $vgpr10_vgpr11_vgpr12_vgpr13_vgpr14_vgpr15_vgpr16_vgpr17
	s_cbranch_vccnz .LBB30_20
; %bb.19:                               ;   in Loop: Header=BB30_4 Depth=1
	v_add_co_u32 v14, vcc_lo, s12, v34
	v_add_co_ci_u32_e64 v15, null, s13, v35, vcc_lo
	v_add_co_u32 v41, vcc_lo, v6, 1
	v_add_co_ci_u32_e64 v42, null, 0, v7, vcc_lo
	s_clause 0x1
	global_load_dwordx4 v[10:13], v[14:15], off
	global_load_dwordx4 v[14:17], v[14:15], off offset:16
	s_mov_b32 s26, 0
	s_waitcnt vmcnt(1)
	v_cmp_neq_f64_e32 vcc_lo, 0, v[10:11]
	v_cndmask_b32_e32 v11, v6, v41, vcc_lo
	v_cndmask_b32_e32 v10, v7, v42, vcc_lo
	v_add_co_u32 v41, vcc_lo, v11, 1
	v_add_co_ci_u32_e64 v42, null, 0, v10, vcc_lo
	v_cmp_neq_f64_e32 vcc_lo, 0, v[12:13]
	v_cndmask_b32_e32 v11, v11, v41, vcc_lo
	v_cndmask_b32_e32 v10, v10, v42, vcc_lo
	v_add_co_u32 v12, vcc_lo, v11, 1
	v_add_co_ci_u32_e64 v13, null, 0, v10, vcc_lo
	s_waitcnt vmcnt(0)
	v_cmp_neq_f64_e32 vcc_lo, 0, v[14:15]
	v_cndmask_b32_e32 v41, v11, v12, vcc_lo
	v_cndmask_b32_e32 v14, v10, v13, vcc_lo
	v_mov_b32_e32 v10, v2
	v_mov_b32_e32 v11, v3
	v_mov_b32_e32 v12, v4
	v_add_co_u32 v42, vcc_lo, v41, 1
	v_add_co_ci_u32_e64 v15, null, 0, v14, vcc_lo
	v_cmp_neq_f64_e32 vcc_lo, 0, v[16:17]
	v_mov_b32_e32 v13, v5
	v_mov_b32_e32 v16, v8
	v_mov_b32_e32 v17, v9
	v_cndmask_b32_e32 v15, v14, v15, vcc_lo
	v_cndmask_b32_e32 v14, v41, v42, vcc_lo
.LBB30_20:                              ;   in Loop: Header=BB30_4 Depth=1
	s_andn2_b32 vcc_lo, exec_lo, s26
	s_cbranch_vccnz .LBB30_22
; %bb.21:                               ;   in Loop: Header=BB30_4 Depth=1
	v_add_co_u32 v10, vcc_lo, s12, v39
	v_add_co_ci_u32_e64 v11, null, s13, v40, vcc_lo
	v_add_co_u32 v12, vcc_lo, s12, v27
	v_add_co_ci_u32_e64 v13, null, s13, v38, vcc_lo
	global_load_dwordx2 v[10:11], v[10:11], off offset:1024
	v_add_co_u32 v14, vcc_lo, s12, v25
	global_load_dwordx2 v[12:13], v[12:13], off offset:1024
	v_add_co_ci_u32_e64 v15, null, s13, v37, vcc_lo
	v_add_co_u32 v16, vcc_lo, s12, v1
	v_add_co_ci_u32_e64 v17, null, s13, v36, vcc_lo
	global_load_dwordx2 v[14:15], v[14:15], off offset:1024
	v_add_co_u32 v41, vcc_lo, v6, 1
	global_load_dwordx2 v[16:17], v[16:17], off offset:1024
	v_add_co_ci_u32_e64 v42, null, 0, v7, vcc_lo
	s_waitcnt vmcnt(3)
	v_cmp_neq_f64_e32 vcc_lo, 0, v[10:11]
	v_cndmask_b32_e32 v6, v6, v41, vcc_lo
	v_cndmask_b32_e32 v7, v7, v42, vcc_lo
	v_add_co_u32 v10, vcc_lo, v6, 1
	v_add_co_ci_u32_e64 v11, null, 0, v7, vcc_lo
	s_waitcnt vmcnt(2)
	v_cmp_neq_f64_e32 vcc_lo, 0, v[12:13]
	v_cndmask_b32_e32 v6, v6, v10, vcc_lo
	v_cndmask_b32_e32 v7, v7, v11, vcc_lo
	v_add_co_u32 v10, vcc_lo, v6, 1
	;; [unrolled: 6-line block ×3, first 2 shown]
	v_add_co_ci_u32_e64 v11, null, 0, v7, vcc_lo
	s_waitcnt vmcnt(0)
	v_cmp_neq_f64_e32 vcc_lo, 0, v[16:17]
	v_cndmask_b32_e32 v7, v7, v11, vcc_lo
	v_cndmask_b32_e32 v6, v6, v10, vcc_lo
	v_mov_b32_e32 v17, v9
	v_mov_b32_e32 v16, v8
	;; [unrolled: 1-line block ×8, first 2 shown]
.LBB30_22:                              ;   in Loop: Header=BB30_4 Depth=1
	v_mov_b32_e32 v2, v10
	v_mov_b32_e32 v3, v11
	;; [unrolled: 1-line block ×8, first 2 shown]
	s_or_b32 exec_lo, exec_lo, s4
	s_and_saveexec_b32 s4, s3
	s_cbranch_execz .LBB30_3
.LBB30_23:                              ;   in Loop: Header=BB30_4 Depth=1
	s_andn2_b32 vcc_lo, exec_lo, s25
	s_mov_b32 s26, -1
                                        ; implicit-def: $vgpr10_vgpr11_vgpr12_vgpr13_vgpr14_vgpr15_vgpr16_vgpr17
	s_cbranch_vccnz .LBB30_25
; %bb.24:                               ;   in Loop: Header=BB30_4 Depth=1
	v_add_co_u32 v14, vcc_lo, s12, v26
	v_add_co_ci_u32_e64 v15, null, s13, v28, vcc_lo
	v_add_co_u32 v41, vcc_lo, v8, 1
	v_add_co_ci_u32_e64 v42, null, 0, v9, vcc_lo
	s_clause 0x1
	global_load_dwordx4 v[10:13], v[14:15], off
	global_load_dwordx4 v[14:17], v[14:15], off offset:16
	s_mov_b32 s26, 0
	s_waitcnt vmcnt(1)
	v_cmp_neq_f64_e32 vcc_lo, 0, v[10:11]
	v_cndmask_b32_e32 v11, v8, v41, vcc_lo
	v_cndmask_b32_e32 v10, v9, v42, vcc_lo
	v_add_co_u32 v41, vcc_lo, v11, 1
	v_add_co_ci_u32_e64 v42, null, 0, v10, vcc_lo
	v_cmp_neq_f64_e32 vcc_lo, 0, v[12:13]
	v_cndmask_b32_e32 v11, v11, v41, vcc_lo
	v_cndmask_b32_e32 v10, v10, v42, vcc_lo
	v_add_co_u32 v12, vcc_lo, v11, 1
	v_add_co_ci_u32_e64 v13, null, 0, v10, vcc_lo
	s_waitcnt vmcnt(0)
	v_cmp_neq_f64_e32 vcc_lo, 0, v[14:15]
	v_mov_b32_e32 v14, v6
	v_cndmask_b32_e32 v41, v11, v12, vcc_lo
	v_cndmask_b32_e32 v15, v10, v13, vcc_lo
	v_mov_b32_e32 v10, v2
	v_mov_b32_e32 v11, v3
	v_mov_b32_e32 v12, v4
	v_add_co_u32 v42, vcc_lo, v41, 1
	v_add_co_ci_u32_e64 v43, null, 0, v15, vcc_lo
	v_cmp_neq_f64_e32 vcc_lo, 0, v[16:17]
	v_mov_b32_e32 v13, v5
	v_cndmask_b32_e32 v17, v15, v43, vcc_lo
	v_cndmask_b32_e32 v16, v41, v42, vcc_lo
	v_mov_b32_e32 v15, v7
.LBB30_25:                              ;   in Loop: Header=BB30_4 Depth=1
	s_andn2_b32 vcc_lo, exec_lo, s26
	s_cbranch_vccnz .LBB30_2
; %bb.26:                               ;   in Loop: Header=BB30_4 Depth=1
	v_add_co_u32 v10, vcc_lo, s12, v39
	v_add_co_ci_u32_e64 v11, null, s13, v40, vcc_lo
	v_add_co_u32 v12, vcc_lo, s12, v27
	v_add_co_ci_u32_e64 v13, null, s13, v38, vcc_lo
	global_load_dwordx2 v[10:11], v[10:11], off offset:1536
	v_add_co_u32 v14, vcc_lo, s12, v25
	global_load_dwordx2 v[12:13], v[12:13], off offset:1536
	v_add_co_ci_u32_e64 v15, null, s13, v37, vcc_lo
	v_add_co_u32 v16, vcc_lo, s12, v1
	v_add_co_ci_u32_e64 v17, null, s13, v36, vcc_lo
	global_load_dwordx2 v[14:15], v[14:15], off offset:1536
	v_add_co_u32 v41, vcc_lo, v8, 1
	global_load_dwordx2 v[16:17], v[16:17], off offset:1536
	v_add_co_ci_u32_e64 v42, null, 0, v9, vcc_lo
	s_waitcnt vmcnt(3)
	v_cmp_neq_f64_e32 vcc_lo, 0, v[10:11]
	v_cndmask_b32_e32 v8, v8, v41, vcc_lo
	v_cndmask_b32_e32 v9, v9, v42, vcc_lo
	v_add_co_u32 v10, vcc_lo, v8, 1
	v_add_co_ci_u32_e64 v11, null, 0, v9, vcc_lo
	s_waitcnt vmcnt(2)
	v_cmp_neq_f64_e32 vcc_lo, 0, v[12:13]
	v_cndmask_b32_e32 v8, v8, v10, vcc_lo
	v_cndmask_b32_e32 v9, v9, v11, vcc_lo
	v_add_co_u32 v10, vcc_lo, v8, 1
	v_add_co_ci_u32_e64 v11, null, 0, v9, vcc_lo
	s_waitcnt vmcnt(1)
	v_cmp_neq_f64_e32 vcc_lo, 0, v[14:15]
	v_cndmask_b32_e32 v8, v8, v10, vcc_lo
	v_cndmask_b32_e32 v9, v9, v11, vcc_lo
	v_add_co_u32 v10, vcc_lo, v8, 1
	v_add_co_ci_u32_e64 v11, null, 0, v9, vcc_lo
	s_waitcnt vmcnt(0)
	v_cmp_neq_f64_e32 vcc_lo, 0, v[16:17]
	v_cndmask_b32_e32 v9, v9, v11, vcc_lo
	v_cndmask_b32_e32 v8, v8, v10, vcc_lo
	v_mov_b32_e32 v17, v9
	v_mov_b32_e32 v16, v8
	;; [unrolled: 1-line block ×8, first 2 shown]
	s_branch .LBB30_2
.LBB30_27:
	s_or_b32 exec_lo, exec_lo, s24
.LBB30_28:
	s_or_b32 exec_lo, exec_lo, s23
	v_cmp_lt_i64_e64 s0, s[6:7], 1
	s_and_b32 vcc_lo, exec_lo, s0
	s_cbranch_vccnz .LBB30_134
; %bb.29:
	v_lshlrev_b64 v[10:11], 3, v[18:19]
	v_lshlrev_b64 v[26:27], 3, v[20:21]
	s_cmp_lg_u32 s22, 1
	s_mov_b32 s2, exec_lo
	s_cselect_b32 s1, -1, 0
	v_add_co_u32 v34, s0, s12, v10
	v_add_co_ci_u32_e64 v35, null, s13, v11, s0
	v_cmpx_gt_i64_e64 s[8:9], v[20:21]
	s_cbranch_execz .LBB30_55
; %bb.30:
	v_mad_u64_u32 v[10:11], null, v20, s14, 0
	v_mov_b32_e32 v1, v11
	v_mad_u64_u32 v[11:12], null, v20, s15, v[1:2]
	v_lshlrev_b64 v[10:11], 3, v[10:11]
	v_add_co_u32 v28, s0, v34, v10
	v_add_co_ci_u32_e64 v29, null, v35, v11, s0
	v_add_co_u32 v1, s0, s12, v26
	v_add_co_ci_u32_e64 v20, null, s13, v27, s0
	s_mov_b32 s0, exec_lo
	v_cmpx_gt_i64_e64 s[10:11], v[18:19]
	s_cbranch_execz .LBB30_36
; %bb.31:
	s_and_b32 vcc_lo, exec_lo, s1
	s_cbranch_vccz .LBB30_33
; %bb.32:
	global_load_dwordx2 v[10:11], v[28:29], off
	s_waitcnt vmcnt(0)
	v_cmp_neq_f64_e32 vcc_lo, 0, v[10:11]
	v_cndmask_b32_e64 v10, 0, 1, vcc_lo
	v_add_co_u32 v23, vcc_lo, v2, v10
	v_add_co_ci_u32_e64 v25, null, 0, v3, vcc_lo
	v_mov_b32_e32 v17, v9
	v_mov_b32_e32 v11, v3
	;; [unrolled: 1-line block ×10, first 2 shown]
	s_cbranch_execz .LBB30_34
	s_branch .LBB30_35
.LBB30_33:
                                        ; implicit-def: $vgpr10_vgpr11_vgpr12_vgpr13_vgpr14_vgpr15_vgpr16_vgpr17
.LBB30_34:
	v_mul_lo_u32 v12, v19, s14
	v_mul_lo_u32 v13, v18, s15
	v_mad_u64_u32 v[10:11], null, v18, s14, 0
	v_add3_u32 v11, v11, v13, v12
	v_lshlrev_b64 v[10:11], 3, v[10:11]
	v_add_co_u32 v10, vcc_lo, v1, v10
	v_add_co_ci_u32_e64 v11, null, v20, v11, vcc_lo
	global_load_dwordx2 v[10:11], v[10:11], off
	s_waitcnt vmcnt(0)
	v_cmp_neq_f64_e32 vcc_lo, 0, v[10:11]
	v_cndmask_b32_e64 v10, 0, 1, vcc_lo
	v_add_co_u32 v2, vcc_lo, v2, v10
	v_add_co_ci_u32_e64 v3, null, 0, v3, vcc_lo
	v_mov_b32_e32 v17, v9
	v_mov_b32_e32 v16, v8
	;; [unrolled: 1-line block ×8, first 2 shown]
.LBB30_35:
	v_mov_b32_e32 v2, v10
	v_mov_b32_e32 v3, v11
	;; [unrolled: 1-line block ×8, first 2 shown]
.LBB30_36:
	s_or_b32 exec_lo, exec_lo, s0
	v_or_b32_e32 v30, 1, v18
	v_mov_b32_e32 v31, v19
	s_mov_b32 s0, exec_lo
	v_cmpx_gt_i64_e64 s[10:11], v[30:31]
	s_cbranch_execz .LBB30_42
; %bb.37:
	s_andn2_b32 vcc_lo, exec_lo, s1
	s_cbranch_vccnz .LBB30_39
; %bb.38:
	global_load_dwordx2 v[10:11], v[28:29], off offset:8
	s_waitcnt vmcnt(0)
	v_cmp_neq_f64_e32 vcc_lo, 0, v[10:11]
	v_cndmask_b32_e64 v10, 0, 1, vcc_lo
	v_add_co_u32 v23, vcc_lo, v2, v10
	v_add_co_ci_u32_e64 v25, null, 0, v3, vcc_lo
	v_mov_b32_e32 v17, v9
	v_mov_b32_e32 v11, v3
	v_mov_b32_e32 v10, v2
	v_mov_b32_e32 v16, v8
	v_mov_b32_e32 v15, v7
	v_mov_b32_e32 v14, v6
	v_mov_b32_e32 v13, v5
	v_mov_b32_e32 v12, v4
	v_mov_b32_e32 v10, v23
	v_mov_b32_e32 v11, v25
	s_cbranch_execz .LBB30_40
	s_branch .LBB30_41
.LBB30_39:
                                        ; implicit-def: $vgpr10_vgpr11_vgpr12_vgpr13_vgpr14_vgpr15_vgpr16_vgpr17
.LBB30_40:
	v_mul_lo_u32 v12, v31, s14
	v_mul_lo_u32 v13, v30, s15
	v_mad_u64_u32 v[10:11], null, v30, s14, 0
	v_add3_u32 v11, v11, v13, v12
	v_lshlrev_b64 v[10:11], 3, v[10:11]
	v_add_co_u32 v10, vcc_lo, v1, v10
	v_add_co_ci_u32_e64 v11, null, v20, v11, vcc_lo
	global_load_dwordx2 v[10:11], v[10:11], off
	s_waitcnt vmcnt(0)
	v_cmp_neq_f64_e32 vcc_lo, 0, v[10:11]
	v_cndmask_b32_e64 v10, 0, 1, vcc_lo
	v_add_co_u32 v2, vcc_lo, v2, v10
	v_add_co_ci_u32_e64 v3, null, 0, v3, vcc_lo
	v_mov_b32_e32 v17, v9
	v_mov_b32_e32 v16, v8
	v_mov_b32_e32 v15, v7
	v_mov_b32_e32 v14, v6
	v_mov_b32_e32 v13, v5
	v_mov_b32_e32 v12, v4
	v_mov_b32_e32 v11, v3
	v_mov_b32_e32 v10, v2
.LBB30_41:
	v_mov_b32_e32 v2, v10
	v_mov_b32_e32 v3, v11
	v_mov_b32_e32 v4, v12
	v_mov_b32_e32 v5, v13
	v_mov_b32_e32 v6, v14
	v_mov_b32_e32 v7, v15
	v_mov_b32_e32 v8, v16
	v_mov_b32_e32 v9, v17
.LBB30_42:
	s_or_b32 exec_lo, exec_lo, s0
	v_or_b32_e32 v30, 2, v18
	v_mov_b32_e32 v31, v19
	s_mov_b32 s0, exec_lo
	v_cmpx_gt_i64_e64 s[10:11], v[30:31]
	s_cbranch_execz .LBB30_48
; %bb.43:
	s_andn2_b32 vcc_lo, exec_lo, s1
	s_cbranch_vccnz .LBB30_45
; %bb.44:
	global_load_dwordx2 v[10:11], v[28:29], off offset:16
	s_waitcnt vmcnt(0)
	v_cmp_neq_f64_e32 vcc_lo, 0, v[10:11]
	v_cndmask_b32_e64 v10, 0, 1, vcc_lo
	v_add_co_u32 v23, vcc_lo, v2, v10
	v_add_co_ci_u32_e64 v25, null, 0, v3, vcc_lo
	v_mov_b32_e32 v17, v9
	v_mov_b32_e32 v11, v3
	v_mov_b32_e32 v10, v2
	v_mov_b32_e32 v16, v8
	v_mov_b32_e32 v15, v7
	v_mov_b32_e32 v14, v6
	v_mov_b32_e32 v13, v5
	v_mov_b32_e32 v12, v4
	v_mov_b32_e32 v10, v23
	v_mov_b32_e32 v11, v25
	s_cbranch_execz .LBB30_46
	s_branch .LBB30_47
.LBB30_45:
                                        ; implicit-def: $vgpr10_vgpr11_vgpr12_vgpr13_vgpr14_vgpr15_vgpr16_vgpr17
.LBB30_46:
	v_mul_lo_u32 v12, v31, s14
	v_mul_lo_u32 v13, v30, s15
	v_mad_u64_u32 v[10:11], null, v30, s14, 0
	v_add3_u32 v11, v11, v13, v12
	v_lshlrev_b64 v[10:11], 3, v[10:11]
	v_add_co_u32 v10, vcc_lo, v1, v10
	v_add_co_ci_u32_e64 v11, null, v20, v11, vcc_lo
	global_load_dwordx2 v[10:11], v[10:11], off
	s_waitcnt vmcnt(0)
	v_cmp_neq_f64_e32 vcc_lo, 0, v[10:11]
	v_cndmask_b32_e64 v10, 0, 1, vcc_lo
	v_add_co_u32 v2, vcc_lo, v2, v10
	v_add_co_ci_u32_e64 v3, null, 0, v3, vcc_lo
	v_mov_b32_e32 v17, v9
	v_mov_b32_e32 v16, v8
	v_mov_b32_e32 v15, v7
	v_mov_b32_e32 v14, v6
	v_mov_b32_e32 v13, v5
	v_mov_b32_e32 v12, v4
	v_mov_b32_e32 v11, v3
	v_mov_b32_e32 v10, v2
.LBB30_47:
	v_mov_b32_e32 v2, v10
	v_mov_b32_e32 v3, v11
	v_mov_b32_e32 v4, v12
	v_mov_b32_e32 v5, v13
	v_mov_b32_e32 v6, v14
	v_mov_b32_e32 v7, v15
	v_mov_b32_e32 v8, v16
	v_mov_b32_e32 v9, v17
.LBB30_48:
	;; [unrolled: 62-line block ×3, first 2 shown]
	s_or_b32 exec_lo, exec_lo, s0
.LBB30_55:
	s_or_b32 exec_lo, exec_lo, s2
	v_mov_b32_e32 v25, v21
	s_mov_b32 s2, exec_lo
	v_cmpx_gt_i64_e64 s[8:9], v[24:25]
	s_cbranch_execz .LBB30_81
; %bb.56:
	v_mad_u64_u32 v[10:11], null, v24, s14, 0
	v_mov_b32_e32 v1, v11
	v_mad_u64_u32 v[11:12], null, v24, s15, v[1:2]
	v_lshlrev_b64 v[10:11], 3, v[10:11]
	v_add_co_u32 v23, s0, v34, v10
	v_add_co_ci_u32_e64 v24, null, v35, v11, s0
	v_add_co_u32 v1, s0, s12, v26
	v_add_co_ci_u32_e64 v20, null, s13, v27, s0
	s_mov_b32 s0, exec_lo
	v_cmpx_gt_i64_e64 s[10:11], v[18:19]
	s_cbranch_execz .LBB30_62
; %bb.57:
	s_andn2_b32 vcc_lo, exec_lo, s1
	s_cbranch_vccnz .LBB30_59
; %bb.58:
	global_load_dwordx2 v[10:11], v[23:24], off
	s_waitcnt vmcnt(0)
	v_cmp_neq_f64_e32 vcc_lo, 0, v[10:11]
	v_cndmask_b32_e64 v10, 0, 1, vcc_lo
	v_add_co_u32 v25, vcc_lo, v4, v10
	v_add_co_ci_u32_e64 v28, null, 0, v5, vcc_lo
	v_mov_b32_e32 v17, v9
	v_mov_b32_e32 v13, v5
	;; [unrolled: 1-line block ×10, first 2 shown]
	s_cbranch_execz .LBB30_60
	s_branch .LBB30_61
.LBB30_59:
                                        ; implicit-def: $vgpr10_vgpr11_vgpr12_vgpr13_vgpr14_vgpr15_vgpr16_vgpr17
.LBB30_60:
	v_mul_lo_u32 v12, v19, s14
	v_mul_lo_u32 v13, v18, s15
	v_mad_u64_u32 v[10:11], null, v18, s14, 0
	v_add3_u32 v11, v11, v13, v12
	v_lshlrev_b64 v[10:11], 3, v[10:11]
	v_add_co_u32 v10, vcc_lo, v1, v10
	v_add_co_ci_u32_e64 v11, null, v20, v11, vcc_lo
	global_load_dwordx2 v[10:11], v[10:11], off offset:512
	s_waitcnt vmcnt(0)
	v_cmp_neq_f64_e32 vcc_lo, 0, v[10:11]
	v_cndmask_b32_e64 v10, 0, 1, vcc_lo
	v_add_co_u32 v4, vcc_lo, v4, v10
	v_add_co_ci_u32_e64 v5, null, 0, v5, vcc_lo
	v_mov_b32_e32 v17, v9
	v_mov_b32_e32 v16, v8
	;; [unrolled: 1-line block ×8, first 2 shown]
.LBB30_61:
	v_mov_b32_e32 v2, v10
	v_mov_b32_e32 v3, v11
	;; [unrolled: 1-line block ×8, first 2 shown]
.LBB30_62:
	s_or_b32 exec_lo, exec_lo, s0
	v_or_b32_e32 v28, 1, v18
	v_mov_b32_e32 v29, v19
	s_mov_b32 s0, exec_lo
	v_cmpx_gt_i64_e64 s[10:11], v[28:29]
	s_cbranch_execz .LBB30_68
; %bb.63:
	s_andn2_b32 vcc_lo, exec_lo, s1
	s_cbranch_vccnz .LBB30_65
; %bb.64:
	global_load_dwordx2 v[10:11], v[23:24], off offset:8
	s_waitcnt vmcnt(0)
	v_cmp_neq_f64_e32 vcc_lo, 0, v[10:11]
	v_cndmask_b32_e64 v10, 0, 1, vcc_lo
	v_add_co_u32 v25, vcc_lo, v4, v10
	v_add_co_ci_u32_e64 v30, null, 0, v5, vcc_lo
	v_mov_b32_e32 v17, v9
	v_mov_b32_e32 v13, v5
	v_mov_b32_e32 v12, v4
	v_mov_b32_e32 v16, v8
	v_mov_b32_e32 v15, v7
	v_mov_b32_e32 v14, v6
	v_mov_b32_e32 v11, v3
	v_mov_b32_e32 v10, v2
	v_mov_b32_e32 v12, v25
	v_mov_b32_e32 v13, v30
	s_cbranch_execz .LBB30_66
	s_branch .LBB30_67
.LBB30_65:
                                        ; implicit-def: $vgpr10_vgpr11_vgpr12_vgpr13_vgpr14_vgpr15_vgpr16_vgpr17
.LBB30_66:
	v_mul_lo_u32 v12, v29, s14
	v_mul_lo_u32 v13, v28, s15
	v_mad_u64_u32 v[10:11], null, v28, s14, 0
	v_add3_u32 v11, v11, v13, v12
	v_lshlrev_b64 v[10:11], 3, v[10:11]
	v_add_co_u32 v10, vcc_lo, v1, v10
	v_add_co_ci_u32_e64 v11, null, v20, v11, vcc_lo
	global_load_dwordx2 v[10:11], v[10:11], off offset:512
	s_waitcnt vmcnt(0)
	v_cmp_neq_f64_e32 vcc_lo, 0, v[10:11]
	v_cndmask_b32_e64 v10, 0, 1, vcc_lo
	v_add_co_u32 v4, vcc_lo, v4, v10
	v_add_co_ci_u32_e64 v5, null, 0, v5, vcc_lo
	v_mov_b32_e32 v17, v9
	v_mov_b32_e32 v16, v8
	v_mov_b32_e32 v15, v7
	v_mov_b32_e32 v14, v6
	v_mov_b32_e32 v13, v5
	v_mov_b32_e32 v12, v4
	v_mov_b32_e32 v11, v3
	v_mov_b32_e32 v10, v2
.LBB30_67:
	v_mov_b32_e32 v2, v10
	v_mov_b32_e32 v3, v11
	v_mov_b32_e32 v4, v12
	v_mov_b32_e32 v5, v13
	v_mov_b32_e32 v6, v14
	v_mov_b32_e32 v7, v15
	v_mov_b32_e32 v8, v16
	v_mov_b32_e32 v9, v17
.LBB30_68:
	s_or_b32 exec_lo, exec_lo, s0
	v_or_b32_e32 v28, 2, v18
	v_mov_b32_e32 v29, v19
	s_mov_b32 s0, exec_lo
	v_cmpx_gt_i64_e64 s[10:11], v[28:29]
	s_cbranch_execz .LBB30_74
; %bb.69:
	s_andn2_b32 vcc_lo, exec_lo, s1
	s_cbranch_vccnz .LBB30_71
; %bb.70:
	global_load_dwordx2 v[10:11], v[23:24], off offset:16
	s_waitcnt vmcnt(0)
	v_cmp_neq_f64_e32 vcc_lo, 0, v[10:11]
	v_cndmask_b32_e64 v10, 0, 1, vcc_lo
	v_add_co_u32 v25, vcc_lo, v4, v10
	v_add_co_ci_u32_e64 v30, null, 0, v5, vcc_lo
	v_mov_b32_e32 v17, v9
	v_mov_b32_e32 v13, v5
	v_mov_b32_e32 v12, v4
	v_mov_b32_e32 v16, v8
	v_mov_b32_e32 v15, v7
	v_mov_b32_e32 v14, v6
	v_mov_b32_e32 v11, v3
	v_mov_b32_e32 v10, v2
	v_mov_b32_e32 v12, v25
	v_mov_b32_e32 v13, v30
	s_cbranch_execz .LBB30_72
	s_branch .LBB30_73
.LBB30_71:
                                        ; implicit-def: $vgpr10_vgpr11_vgpr12_vgpr13_vgpr14_vgpr15_vgpr16_vgpr17
.LBB30_72:
	v_mul_lo_u32 v12, v29, s14
	v_mul_lo_u32 v13, v28, s15
	v_mad_u64_u32 v[10:11], null, v28, s14, 0
	v_add3_u32 v11, v11, v13, v12
	v_lshlrev_b64 v[10:11], 3, v[10:11]
	v_add_co_u32 v10, vcc_lo, v1, v10
	v_add_co_ci_u32_e64 v11, null, v20, v11, vcc_lo
	global_load_dwordx2 v[10:11], v[10:11], off offset:512
	s_waitcnt vmcnt(0)
	v_cmp_neq_f64_e32 vcc_lo, 0, v[10:11]
	v_cndmask_b32_e64 v10, 0, 1, vcc_lo
	v_add_co_u32 v4, vcc_lo, v4, v10
	v_add_co_ci_u32_e64 v5, null, 0, v5, vcc_lo
	v_mov_b32_e32 v17, v9
	v_mov_b32_e32 v16, v8
	v_mov_b32_e32 v15, v7
	v_mov_b32_e32 v14, v6
	v_mov_b32_e32 v13, v5
	v_mov_b32_e32 v12, v4
	v_mov_b32_e32 v11, v3
	v_mov_b32_e32 v10, v2
.LBB30_73:
	v_mov_b32_e32 v2, v10
	v_mov_b32_e32 v3, v11
	v_mov_b32_e32 v4, v12
	v_mov_b32_e32 v5, v13
	v_mov_b32_e32 v6, v14
	v_mov_b32_e32 v7, v15
	v_mov_b32_e32 v8, v16
	v_mov_b32_e32 v9, v17
.LBB30_74:
	;; [unrolled: 62-line block ×3, first 2 shown]
	s_or_b32 exec_lo, exec_lo, s0
.LBB30_81:
	s_or_b32 exec_lo, exec_lo, s2
	v_mov_b32_e32 v23, v21
	s_mov_b32 s2, exec_lo
	v_cmpx_gt_i64_e64 s[8:9], v[22:23]
	s_cbranch_execz .LBB30_107
; %bb.82:
	v_mad_u64_u32 v[10:11], null, v22, s14, 0
	v_mov_b32_e32 v1, v11
	v_mad_u64_u32 v[11:12], null, v22, s15, v[1:2]
	v_lshlrev_b64 v[10:11], 3, v[10:11]
	v_add_co_u32 v22, s0, v34, v10
	v_add_co_ci_u32_e64 v23, null, v35, v11, s0
	v_add_co_u32 v1, s0, s12, v26
	v_add_co_ci_u32_e64 v20, null, s13, v27, s0
	s_mov_b32 s0, exec_lo
	v_cmpx_gt_i64_e64 s[10:11], v[18:19]
	s_cbranch_execz .LBB30_88
; %bb.83:
	s_andn2_b32 vcc_lo, exec_lo, s1
	s_cbranch_vccnz .LBB30_85
; %bb.84:
	global_load_dwordx2 v[10:11], v[22:23], off
	s_waitcnt vmcnt(0)
	v_cmp_neq_f64_e32 vcc_lo, 0, v[10:11]
	v_cndmask_b32_e64 v10, 0, 1, vcc_lo
	v_add_co_u32 v24, vcc_lo, v6, v10
	v_add_co_ci_u32_e64 v25, null, 0, v7, vcc_lo
	v_mov_b32_e32 v17, v9
	v_mov_b32_e32 v15, v7
	;; [unrolled: 1-line block ×10, first 2 shown]
	s_cbranch_execz .LBB30_86
	s_branch .LBB30_87
.LBB30_85:
                                        ; implicit-def: $vgpr10_vgpr11_vgpr12_vgpr13_vgpr14_vgpr15_vgpr16_vgpr17
.LBB30_86:
	v_mul_lo_u32 v12, v19, s14
	v_mul_lo_u32 v13, v18, s15
	v_mad_u64_u32 v[10:11], null, v18, s14, 0
	v_add3_u32 v11, v11, v13, v12
	v_lshlrev_b64 v[10:11], 3, v[10:11]
	v_add_co_u32 v10, vcc_lo, v1, v10
	v_add_co_ci_u32_e64 v11, null, v20, v11, vcc_lo
	global_load_dwordx2 v[10:11], v[10:11], off offset:1024
	s_waitcnt vmcnt(0)
	v_cmp_neq_f64_e32 vcc_lo, 0, v[10:11]
	v_cndmask_b32_e64 v10, 0, 1, vcc_lo
	v_add_co_u32 v6, vcc_lo, v6, v10
	v_add_co_ci_u32_e64 v7, null, 0, v7, vcc_lo
	v_mov_b32_e32 v17, v9
	v_mov_b32_e32 v16, v8
	;; [unrolled: 1-line block ×8, first 2 shown]
.LBB30_87:
	v_mov_b32_e32 v2, v10
	v_mov_b32_e32 v3, v11
	;; [unrolled: 1-line block ×8, first 2 shown]
.LBB30_88:
	s_or_b32 exec_lo, exec_lo, s0
	v_or_b32_e32 v24, 1, v18
	v_mov_b32_e32 v25, v19
	s_mov_b32 s0, exec_lo
	v_cmpx_gt_i64_e64 s[10:11], v[24:25]
	s_cbranch_execz .LBB30_94
; %bb.89:
	s_andn2_b32 vcc_lo, exec_lo, s1
	s_cbranch_vccnz .LBB30_91
; %bb.90:
	global_load_dwordx2 v[10:11], v[22:23], off offset:8
	s_waitcnt vmcnt(0)
	v_cmp_neq_f64_e32 vcc_lo, 0, v[10:11]
	v_cndmask_b32_e64 v10, 0, 1, vcc_lo
	v_add_co_u32 v28, vcc_lo, v6, v10
	v_add_co_ci_u32_e64 v29, null, 0, v7, vcc_lo
	v_mov_b32_e32 v17, v9
	v_mov_b32_e32 v15, v7
	v_mov_b32_e32 v14, v6
	v_mov_b32_e32 v16, v8
	v_mov_b32_e32 v13, v5
	v_mov_b32_e32 v12, v4
	v_mov_b32_e32 v11, v3
	v_mov_b32_e32 v10, v2
	v_mov_b32_e32 v14, v28
	v_mov_b32_e32 v15, v29
	s_cbranch_execz .LBB30_92
	s_branch .LBB30_93
.LBB30_91:
                                        ; implicit-def: $vgpr10_vgpr11_vgpr12_vgpr13_vgpr14_vgpr15_vgpr16_vgpr17
.LBB30_92:
	v_mul_lo_u32 v12, v25, s14
	v_mul_lo_u32 v13, v24, s15
	v_mad_u64_u32 v[10:11], null, v24, s14, 0
	v_add3_u32 v11, v11, v13, v12
	v_lshlrev_b64 v[10:11], 3, v[10:11]
	v_add_co_u32 v10, vcc_lo, v1, v10
	v_add_co_ci_u32_e64 v11, null, v20, v11, vcc_lo
	global_load_dwordx2 v[10:11], v[10:11], off offset:1024
	s_waitcnt vmcnt(0)
	v_cmp_neq_f64_e32 vcc_lo, 0, v[10:11]
	v_cndmask_b32_e64 v10, 0, 1, vcc_lo
	v_add_co_u32 v6, vcc_lo, v6, v10
	v_add_co_ci_u32_e64 v7, null, 0, v7, vcc_lo
	v_mov_b32_e32 v17, v9
	v_mov_b32_e32 v16, v8
	v_mov_b32_e32 v14, v6
	v_mov_b32_e32 v15, v7
	v_mov_b32_e32 v13, v5
	v_mov_b32_e32 v12, v4
	v_mov_b32_e32 v11, v3
	v_mov_b32_e32 v10, v2
.LBB30_93:
	v_mov_b32_e32 v2, v10
	v_mov_b32_e32 v3, v11
	v_mov_b32_e32 v4, v12
	v_mov_b32_e32 v5, v13
	v_mov_b32_e32 v6, v14
	v_mov_b32_e32 v7, v15
	v_mov_b32_e32 v8, v16
	v_mov_b32_e32 v9, v17
.LBB30_94:
	s_or_b32 exec_lo, exec_lo, s0
	v_or_b32_e32 v24, 2, v18
	v_mov_b32_e32 v25, v19
	s_mov_b32 s0, exec_lo
	v_cmpx_gt_i64_e64 s[10:11], v[24:25]
	s_cbranch_execz .LBB30_100
; %bb.95:
	s_andn2_b32 vcc_lo, exec_lo, s1
	s_cbranch_vccnz .LBB30_97
; %bb.96:
	global_load_dwordx2 v[10:11], v[22:23], off offset:16
	s_waitcnt vmcnt(0)
	v_cmp_neq_f64_e32 vcc_lo, 0, v[10:11]
	v_cndmask_b32_e64 v10, 0, 1, vcc_lo
	v_add_co_u32 v28, vcc_lo, v6, v10
	v_add_co_ci_u32_e64 v29, null, 0, v7, vcc_lo
	v_mov_b32_e32 v17, v9
	v_mov_b32_e32 v15, v7
	v_mov_b32_e32 v14, v6
	v_mov_b32_e32 v16, v8
	v_mov_b32_e32 v13, v5
	v_mov_b32_e32 v12, v4
	v_mov_b32_e32 v11, v3
	v_mov_b32_e32 v10, v2
	v_mov_b32_e32 v14, v28
	v_mov_b32_e32 v15, v29
	s_cbranch_execz .LBB30_98
	s_branch .LBB30_99
.LBB30_97:
                                        ; implicit-def: $vgpr10_vgpr11_vgpr12_vgpr13_vgpr14_vgpr15_vgpr16_vgpr17
.LBB30_98:
	v_mul_lo_u32 v12, v25, s14
	v_mul_lo_u32 v13, v24, s15
	v_mad_u64_u32 v[10:11], null, v24, s14, 0
	v_add3_u32 v11, v11, v13, v12
	v_lshlrev_b64 v[10:11], 3, v[10:11]
	v_add_co_u32 v10, vcc_lo, v1, v10
	v_add_co_ci_u32_e64 v11, null, v20, v11, vcc_lo
	global_load_dwordx2 v[10:11], v[10:11], off offset:1024
	s_waitcnt vmcnt(0)
	v_cmp_neq_f64_e32 vcc_lo, 0, v[10:11]
	v_cndmask_b32_e64 v10, 0, 1, vcc_lo
	v_add_co_u32 v6, vcc_lo, v6, v10
	v_add_co_ci_u32_e64 v7, null, 0, v7, vcc_lo
	v_mov_b32_e32 v17, v9
	v_mov_b32_e32 v16, v8
	v_mov_b32_e32 v14, v6
	v_mov_b32_e32 v15, v7
	v_mov_b32_e32 v13, v5
	v_mov_b32_e32 v12, v4
	v_mov_b32_e32 v11, v3
	v_mov_b32_e32 v10, v2
.LBB30_99:
	v_mov_b32_e32 v2, v10
	v_mov_b32_e32 v3, v11
	v_mov_b32_e32 v4, v12
	v_mov_b32_e32 v5, v13
	v_mov_b32_e32 v6, v14
	v_mov_b32_e32 v7, v15
	v_mov_b32_e32 v8, v16
	v_mov_b32_e32 v9, v17
.LBB30_100:
	;; [unrolled: 62-line block ×3, first 2 shown]
	s_or_b32 exec_lo, exec_lo, s0
.LBB30_107:
	s_or_b32 exec_lo, exec_lo, s2
	v_mov_b32_e32 v1, v21
	s_mov_b32 s2, exec_lo
	v_cmpx_gt_i64_e64 s[8:9], v[0:1]
	s_cbranch_execz .LBB30_133
; %bb.108:
	v_mad_u64_u32 v[10:11], null, v0, s14, 0
	v_add_co_u32 v22, vcc_lo, s12, v26
	v_add_co_ci_u32_e64 v23, null, s13, v27, vcc_lo
	v_cndmask_b32_e64 v24, 0, 1, s1
	v_mov_b32_e32 v1, v11
	v_mad_u64_u32 v[0:1], null, v0, s15, v[1:2]
	v_mov_b32_e32 v11, v0
	v_lshlrev_b64 v[0:1], 3, v[10:11]
	v_add_co_u32 v0, s0, v34, v0
	v_add_co_ci_u32_e64 v1, null, v35, v1, s0
	s_mov_b32 s0, exec_lo
	v_cmpx_gt_i64_e64 s[10:11], v[18:19]
	s_cbranch_execz .LBB30_114
; %bb.109:
	s_andn2_b32 vcc_lo, exec_lo, s1
	s_cbranch_vccnz .LBB30_111
; %bb.110:
	global_load_dwordx2 v[10:11], v[0:1], off
	s_waitcnt vmcnt(0)
	v_cmp_neq_f64_e32 vcc_lo, 0, v[10:11]
	v_cndmask_b32_e64 v10, 0, 1, vcc_lo
	v_add_co_u32 v20, vcc_lo, v8, v10
	v_add_co_ci_u32_e64 v21, null, 0, v9, vcc_lo
	v_mov_b32_e32 v17, v9
	v_mov_b32_e32 v16, v8
	;; [unrolled: 1-line block ×10, first 2 shown]
	s_cbranch_execz .LBB30_112
	s_branch .LBB30_113
.LBB30_111:
                                        ; implicit-def: $vgpr10_vgpr11_vgpr12_vgpr13_vgpr14_vgpr15_vgpr16_vgpr17
.LBB30_112:
	v_mul_lo_u32 v12, v19, s14
	v_mul_lo_u32 v13, v18, s15
	v_mad_u64_u32 v[10:11], null, v18, s14, 0
	v_add3_u32 v11, v11, v13, v12
	v_lshlrev_b64 v[10:11], 3, v[10:11]
	v_add_co_u32 v10, vcc_lo, v22, v10
	v_add_co_ci_u32_e64 v11, null, v23, v11, vcc_lo
	global_load_dwordx2 v[10:11], v[10:11], off offset:1536
	s_waitcnt vmcnt(0)
	v_cmp_neq_f64_e32 vcc_lo, 0, v[10:11]
	v_cndmask_b32_e64 v10, 0, 1, vcc_lo
	v_add_co_u32 v8, vcc_lo, v8, v10
	v_add_co_ci_u32_e64 v9, null, 0, v9, vcc_lo
	v_mov_b32_e32 v17, v9
	v_mov_b32_e32 v16, v8
	;; [unrolled: 1-line block ×8, first 2 shown]
.LBB30_113:
	v_mov_b32_e32 v2, v10
	v_mov_b32_e32 v3, v11
	;; [unrolled: 1-line block ×8, first 2 shown]
.LBB30_114:
	s_or_b32 exec_lo, exec_lo, s0
	v_or_b32_e32 v20, 1, v18
	v_mov_b32_e32 v21, v19
	s_mov_b32 s0, exec_lo
	v_cmpx_gt_i64_e64 s[10:11], v[20:21]
	s_cbranch_execz .LBB30_120
; %bb.115:
	v_cmp_ne_u32_e32 vcc_lo, 1, v24
	s_cbranch_vccnz .LBB30_117
; %bb.116:
	global_load_dwordx2 v[10:11], v[0:1], off offset:8
	s_waitcnt vmcnt(0)
	v_cmp_neq_f64_e32 vcc_lo, 0, v[10:11]
	v_cndmask_b32_e64 v10, 0, 1, vcc_lo
	v_add_co_u32 v25, vcc_lo, v8, v10
	v_add_co_ci_u32_e64 v26, null, 0, v9, vcc_lo
	v_mov_b32_e32 v17, v9
	v_mov_b32_e32 v16, v8
	;; [unrolled: 1-line block ×10, first 2 shown]
	s_cbranch_execz .LBB30_118
	s_branch .LBB30_119
.LBB30_117:
                                        ; implicit-def: $vgpr10_vgpr11_vgpr12_vgpr13_vgpr14_vgpr15_vgpr16_vgpr17
.LBB30_118:
	v_mul_lo_u32 v12, v21, s14
	v_mul_lo_u32 v13, v20, s15
	v_mad_u64_u32 v[10:11], null, v20, s14, 0
	v_add3_u32 v11, v11, v13, v12
	v_lshlrev_b64 v[10:11], 3, v[10:11]
	v_add_co_u32 v10, vcc_lo, v22, v10
	v_add_co_ci_u32_e64 v11, null, v23, v11, vcc_lo
	global_load_dwordx2 v[10:11], v[10:11], off offset:1536
	s_waitcnt vmcnt(0)
	v_cmp_neq_f64_e32 vcc_lo, 0, v[10:11]
	v_cndmask_b32_e64 v10, 0, 1, vcc_lo
	v_add_co_u32 v8, vcc_lo, v8, v10
	v_add_co_ci_u32_e64 v9, null, 0, v9, vcc_lo
	v_mov_b32_e32 v17, v9
	v_mov_b32_e32 v16, v8
	;; [unrolled: 1-line block ×8, first 2 shown]
.LBB30_119:
	v_mov_b32_e32 v2, v10
	v_mov_b32_e32 v3, v11
	;; [unrolled: 1-line block ×8, first 2 shown]
.LBB30_120:
	s_or_b32 exec_lo, exec_lo, s0
	v_or_b32_e32 v20, 2, v18
	v_mov_b32_e32 v21, v19
	s_mov_b32 s0, exec_lo
	v_cmpx_gt_i64_e64 s[10:11], v[20:21]
	s_cbranch_execz .LBB30_126
; %bb.121:
	v_cmp_ne_u32_e32 vcc_lo, 1, v24
	s_cbranch_vccnz .LBB30_123
; %bb.122:
	global_load_dwordx2 v[10:11], v[0:1], off offset:16
	s_waitcnt vmcnt(0)
	v_cmp_neq_f64_e32 vcc_lo, 0, v[10:11]
	v_cndmask_b32_e64 v10, 0, 1, vcc_lo
	v_add_co_u32 v25, vcc_lo, v8, v10
	v_add_co_ci_u32_e64 v26, null, 0, v9, vcc_lo
	v_mov_b32_e32 v17, v9
	v_mov_b32_e32 v16, v8
	;; [unrolled: 1-line block ×10, first 2 shown]
	s_cbranch_execz .LBB30_124
	s_branch .LBB30_125
.LBB30_123:
                                        ; implicit-def: $vgpr10_vgpr11_vgpr12_vgpr13_vgpr14_vgpr15_vgpr16_vgpr17
.LBB30_124:
	v_mul_lo_u32 v12, v21, s14
	v_mul_lo_u32 v13, v20, s15
	v_mad_u64_u32 v[10:11], null, v20, s14, 0
	v_add3_u32 v11, v11, v13, v12
	v_lshlrev_b64 v[10:11], 3, v[10:11]
	v_add_co_u32 v10, vcc_lo, v22, v10
	v_add_co_ci_u32_e64 v11, null, v23, v11, vcc_lo
	global_load_dwordx2 v[10:11], v[10:11], off offset:1536
	s_waitcnt vmcnt(0)
	v_cmp_neq_f64_e32 vcc_lo, 0, v[10:11]
	v_cndmask_b32_e64 v10, 0, 1, vcc_lo
	v_add_co_u32 v8, vcc_lo, v8, v10
	v_add_co_ci_u32_e64 v9, null, 0, v9, vcc_lo
	v_mov_b32_e32 v17, v9
	v_mov_b32_e32 v16, v8
	;; [unrolled: 1-line block ×8, first 2 shown]
.LBB30_125:
	v_mov_b32_e32 v2, v10
	v_mov_b32_e32 v3, v11
	v_mov_b32_e32 v4, v12
	v_mov_b32_e32 v5, v13
	v_mov_b32_e32 v6, v14
	v_mov_b32_e32 v7, v15
	v_mov_b32_e32 v8, v16
	v_mov_b32_e32 v9, v17
.LBB30_126:
	s_or_b32 exec_lo, exec_lo, s0
	v_or_b32_e32 v18, 3, v18
	s_mov_b32 s0, exec_lo
	v_cmpx_gt_i64_e64 s[10:11], v[18:19]
	s_cbranch_execz .LBB30_132
; %bb.127:
	v_cmp_ne_u32_e32 vcc_lo, 1, v24
	s_cbranch_vccnz .LBB30_129
; %bb.128:
	global_load_dwordx2 v[0:1], v[0:1], off offset:24
	v_mov_b32_e32 v17, v9
	v_mov_b32_e32 v16, v8
	;; [unrolled: 1-line block ×8, first 2 shown]
	s_waitcnt vmcnt(0)
	v_cmp_neq_f64_e32 vcc_lo, 0, v[0:1]
	v_cndmask_b32_e64 v0, 0, 1, vcc_lo
	v_add_co_u32 v0, vcc_lo, v8, v0
	v_add_co_ci_u32_e64 v1, null, 0, v9, vcc_lo
	v_mov_b32_e32 v16, v0
	v_mov_b32_e32 v17, v1
	s_cbranch_execz .LBB30_130
	s_branch .LBB30_131
.LBB30_129:
                                        ; implicit-def: $vgpr10_vgpr11_vgpr12_vgpr13_vgpr14_vgpr15_vgpr16_vgpr17
.LBB30_130:
	v_mul_lo_u32 v10, v19, s14
	v_mul_lo_u32 v11, v18, s15
	v_mad_u64_u32 v[0:1], null, v18, s14, 0
	v_add3_u32 v1, v1, v11, v10
	v_lshlrev_b64 v[0:1], 3, v[0:1]
	v_add_co_u32 v0, vcc_lo, v22, v0
	v_add_co_ci_u32_e64 v1, null, v23, v1, vcc_lo
	global_load_dwordx2 v[0:1], v[0:1], off offset:1536
	s_waitcnt vmcnt(0)
	v_cmp_neq_f64_e32 vcc_lo, 0, v[0:1]
	v_cndmask_b32_e64 v0, 0, 1, vcc_lo
	v_add_co_u32 v8, vcc_lo, v8, v0
	v_add_co_ci_u32_e64 v9, null, 0, v9, vcc_lo
	v_mov_b32_e32 v17, v9
	v_mov_b32_e32 v16, v8
	;; [unrolled: 1-line block ×8, first 2 shown]
.LBB30_131:
	v_mov_b32_e32 v2, v10
	v_mov_b32_e32 v3, v11
	;; [unrolled: 1-line block ×8, first 2 shown]
.LBB30_132:
	s_or_b32 exec_lo, exec_lo, s0
.LBB30_133:
	s_or_b32 exec_lo, exec_lo, s2
.LBB30_134:
	v_lshlrev_b32_e32 v0, 5, v32
	v_lshlrev_b32_e32 v1, 3, v33
	s_mov_b32 s0, exec_lo
	v_and_or_b32 v0, 0xfffff800, v0, v1
	ds_write2st64_b64 v0, v[2:3], v[4:5] offset1:1
	ds_write2st64_b64 v0, v[6:7], v[8:9] offset0:2 offset1:3
	s_waitcnt lgkmcnt(0)
	s_barrier
	buffer_gl0_inv
	v_cmpx_gt_u32_e32 0x100, v32
	s_cbranch_execz .LBB30_137
; %bb.135:
	v_lshlrev_b32_e32 v12, 3, v32
	ds_read2st64_b64 v[0:3], v12 offset1:4
	ds_read2st64_b64 v[4:7], v12 offset0:8 offset1:12
	ds_read2st64_b64 v[8:11], v12 offset0:16 offset1:20
	s_waitcnt lgkmcnt(2)
	v_add_co_u32 v13, vcc_lo, v0, v2
	v_add_co_ci_u32_e64 v14, null, v1, v3, vcc_lo
	ds_read2st64_b64 v[0:3], v12 offset0:24 offset1:28
	s_waitcnt lgkmcnt(2)
	v_add_co_u32 v4, vcc_lo, v13, v4
	v_add_co_ci_u32_e64 v5, null, v14, v5, vcc_lo
	v_add_co_u32 v13, vcc_lo, v4, v6
	v_add_co_ci_u32_e64 v14, null, v5, v7, vcc_lo
	ds_read2st64_b64 v[4:7], v12 offset0:32 offset1:36
	s_waitcnt lgkmcnt(2)
	v_add_co_u32 v8, vcc_lo, v13, v8
	v_add_co_ci_u32_e64 v9, null, v14, v9, vcc_lo
	;; [unrolled: 6-line block ×5, first 2 shown]
	v_add_co_u32 v8, vcc_lo, v8, v10
	v_add_co_ci_u32_e64 v9, null, v9, v11, vcc_lo
	s_waitcnt lgkmcnt(1)
	v_add_co_u32 v0, vcc_lo, v8, v0
	v_add_co_ci_u32_e64 v1, null, v9, v1, vcc_lo
	v_add_co_u32 v0, vcc_lo, v0, v2
	v_add_co_ci_u32_e64 v1, null, v1, v3, vcc_lo
	v_add_co_u32 v2, s0, v32, s5
	s_waitcnt lgkmcnt(0)
	v_add_co_u32 v0, vcc_lo, v0, v4
	v_add_co_ci_u32_e64 v1, null, v1, v5, vcc_lo
	v_add_co_ci_u32_e64 v3, null, 0, 0, s0
	v_add_co_u32 v0, vcc_lo, v0, v6
	v_add_co_ci_u32_e64 v1, null, v1, v7, vcc_lo
	v_cmp_gt_i64_e32 vcc_lo, s[8:9], v[2:3]
	ds_write_b64 v12, v[0:1]
	s_and_b32 exec_lo, exec_lo, vcc_lo
	s_cbranch_execz .LBB30_137
; %bb.136:
	v_lshlrev_b64 v[2:3], 3, v[2:3]
	v_add_co_u32 v2, vcc_lo, s16, v2
	v_add_co_ci_u32_e64 v3, null, s17, v3, vcc_lo
	global_store_dwordx2 v[2:3], v[0:1], off
.LBB30_137:
	s_endpgm
	.section	.rodata,"a",@progbits
	.p2align	6, 0x0
	.amdhsa_kernel _ZN9rocsparseL14nnz_kernel_rowILi64ELi16ElldEEv16rocsparse_order_T2_S2_PKT3_lPT1_
		.amdhsa_group_segment_fixed_size 32768
		.amdhsa_private_segment_fixed_size 0
		.amdhsa_kernarg_size 304
		.amdhsa_user_sgpr_count 6
		.amdhsa_user_sgpr_private_segment_buffer 1
		.amdhsa_user_sgpr_dispatch_ptr 0
		.amdhsa_user_sgpr_queue_ptr 0
		.amdhsa_user_sgpr_kernarg_segment_ptr 1
		.amdhsa_user_sgpr_dispatch_id 0
		.amdhsa_user_sgpr_flat_scratch_init 0
		.amdhsa_user_sgpr_private_segment_size 0
		.amdhsa_wavefront_size32 1
		.amdhsa_uses_dynamic_stack 0
		.amdhsa_system_sgpr_private_segment_wavefront_offset 0
		.amdhsa_system_sgpr_workgroup_id_x 1
		.amdhsa_system_sgpr_workgroup_id_y 0
		.amdhsa_system_sgpr_workgroup_id_z 0
		.amdhsa_system_sgpr_workgroup_info 0
		.amdhsa_system_vgpr_workitem_id 1
		.amdhsa_next_free_vgpr 44
		.amdhsa_next_free_sgpr 27
		.amdhsa_reserve_vcc 1
		.amdhsa_reserve_flat_scratch 0
		.amdhsa_float_round_mode_32 0
		.amdhsa_float_round_mode_16_64 0
		.amdhsa_float_denorm_mode_32 3
		.amdhsa_float_denorm_mode_16_64 3
		.amdhsa_dx10_clamp 1
		.amdhsa_ieee_mode 1
		.amdhsa_fp16_overflow 0
		.amdhsa_workgroup_processor_mode 1
		.amdhsa_memory_ordered 1
		.amdhsa_forward_progress 1
		.amdhsa_shared_vgpr_count 0
		.amdhsa_exception_fp_ieee_invalid_op 0
		.amdhsa_exception_fp_denorm_src 0
		.amdhsa_exception_fp_ieee_div_zero 0
		.amdhsa_exception_fp_ieee_overflow 0
		.amdhsa_exception_fp_ieee_underflow 0
		.amdhsa_exception_fp_ieee_inexact 0
		.amdhsa_exception_int_div_zero 0
	.end_amdhsa_kernel
	.section	.text._ZN9rocsparseL14nnz_kernel_rowILi64ELi16ElldEEv16rocsparse_order_T2_S2_PKT3_lPT1_,"axG",@progbits,_ZN9rocsparseL14nnz_kernel_rowILi64ELi16ElldEEv16rocsparse_order_T2_S2_PKT3_lPT1_,comdat
.Lfunc_end30:
	.size	_ZN9rocsparseL14nnz_kernel_rowILi64ELi16ElldEEv16rocsparse_order_T2_S2_PKT3_lPT1_, .Lfunc_end30-_ZN9rocsparseL14nnz_kernel_rowILi64ELi16ElldEEv16rocsparse_order_T2_S2_PKT3_lPT1_
                                        ; -- End function
	.set _ZN9rocsparseL14nnz_kernel_rowILi64ELi16ElldEEv16rocsparse_order_T2_S2_PKT3_lPT1_.num_vgpr, 44
	.set _ZN9rocsparseL14nnz_kernel_rowILi64ELi16ElldEEv16rocsparse_order_T2_S2_PKT3_lPT1_.num_agpr, 0
	.set _ZN9rocsparseL14nnz_kernel_rowILi64ELi16ElldEEv16rocsparse_order_T2_S2_PKT3_lPT1_.numbered_sgpr, 27
	.set _ZN9rocsparseL14nnz_kernel_rowILi64ELi16ElldEEv16rocsparse_order_T2_S2_PKT3_lPT1_.num_named_barrier, 0
	.set _ZN9rocsparseL14nnz_kernel_rowILi64ELi16ElldEEv16rocsparse_order_T2_S2_PKT3_lPT1_.private_seg_size, 0
	.set _ZN9rocsparseL14nnz_kernel_rowILi64ELi16ElldEEv16rocsparse_order_T2_S2_PKT3_lPT1_.uses_vcc, 1
	.set _ZN9rocsparseL14nnz_kernel_rowILi64ELi16ElldEEv16rocsparse_order_T2_S2_PKT3_lPT1_.uses_flat_scratch, 0
	.set _ZN9rocsparseL14nnz_kernel_rowILi64ELi16ElldEEv16rocsparse_order_T2_S2_PKT3_lPT1_.has_dyn_sized_stack, 0
	.set _ZN9rocsparseL14nnz_kernel_rowILi64ELi16ElldEEv16rocsparse_order_T2_S2_PKT3_lPT1_.has_recursion, 0
	.set _ZN9rocsparseL14nnz_kernel_rowILi64ELi16ElldEEv16rocsparse_order_T2_S2_PKT3_lPT1_.has_indirect_call, 0
	.section	.AMDGPU.csdata,"",@progbits
; Kernel info:
; codeLenInByte = 8356
; TotalNumSgprs: 29
; NumVgprs: 44
; ScratchSize: 0
; MemoryBound: 0
; FloatMode: 240
; IeeeMode: 1
; LDSByteSize: 32768 bytes/workgroup (compile time only)
; SGPRBlocks: 0
; VGPRBlocks: 5
; NumSGPRsForWavesPerEU: 29
; NumVGPRsForWavesPerEU: 44
; Occupancy: 16
; WaveLimiterHint : 0
; COMPUTE_PGM_RSRC2:SCRATCH_EN: 0
; COMPUTE_PGM_RSRC2:USER_SGPR: 6
; COMPUTE_PGM_RSRC2:TRAP_HANDLER: 0
; COMPUTE_PGM_RSRC2:TGID_X_EN: 1
; COMPUTE_PGM_RSRC2:TGID_Y_EN: 0
; COMPUTE_PGM_RSRC2:TGID_Z_EN: 0
; COMPUTE_PGM_RSRC2:TIDIG_COMP_CNT: 1
	.section	.text._ZN9rocsparseL14nnz_kernel_colILi256ElldEEv16rocsparse_order_T1_S2_PKT2_lPT0_,"axG",@progbits,_ZN9rocsparseL14nnz_kernel_colILi256ElldEEv16rocsparse_order_T1_S2_PKT2_lPT0_,comdat
	.globl	_ZN9rocsparseL14nnz_kernel_colILi256ElldEEv16rocsparse_order_T1_S2_PKT2_lPT0_ ; -- Begin function _ZN9rocsparseL14nnz_kernel_colILi256ElldEEv16rocsparse_order_T1_S2_PKT2_lPT0_
	.p2align	8
	.type	_ZN9rocsparseL14nnz_kernel_colILi256ElldEEv16rocsparse_order_T1_S2_PKT2_lPT0_,@function
_ZN9rocsparseL14nnz_kernel_colILi256ElldEEv16rocsparse_order_T1_S2_PKT2_lPT0_: ; @_ZN9rocsparseL14nnz_kernel_colILi256ElldEEv16rocsparse_order_T1_S2_PKT2_lPT0_
; %bb.0:
	s_clause 0x2
	s_load_dwordx2 s[8:9], s[4:5], 0x8
	s_load_dword s7, s[4:5], 0x0
	s_load_dwordx4 s[0:3], s[4:5], 0x18
	v_mov_b32_e32 v1, 0
	s_waitcnt lgkmcnt(0)
	s_ashr_i32 s10, s9, 31
	v_cmp_gt_i64_e64 s12, 0x100, s[8:9]
	s_lshr_b32 s10, s10, 24
	s_add_u32 s10, s8, s10
	s_addc_u32 s11, s9, 0
	s_and_b32 s10, s10, 0xffffff00
	s_cmp_eq_u32 s7, 1
	s_mov_b32 s7, 0
	s_cbranch_scc1 .LBB31_6
; %bb.1:
	v_mov_b32_e32 v2, 0
	v_mov_b32_e32 v3, 0
	s_and_b32 vcc_lo, exec_lo, s12
	s_cbranch_vccnz .LBB31_7
; %bb.2:
	v_mad_u64_u32 v[2:3], null, s2, v0, 0
	s_lshl_b64 s[12:13], s[6:7], 3
	s_mov_b64 s[14:15], 0
	s_add_u32 s12, s0, s12
	s_addc_u32 s13, s1, s13
	v_mad_u64_u32 v[3:4], null, s3, v0, v[3:4]
	v_lshlrev_b64 v[4:5], 3, v[2:3]
	v_mov_b32_e32 v2, 0
	v_mov_b32_e32 v3, 0
	v_add_co_u32 v4, vcc_lo, s12, v4
	v_add_co_ci_u32_e64 v5, null, s13, v5, vcc_lo
	s_lshl_b64 s[12:13], s[2:3], 11
	s_inst_prefetch 0x1
	s_branch .LBB31_4
	.p2align	6
.LBB31_3:                               ;   in Loop: Header=BB31_4 Depth=1
	s_or_b32 exec_lo, exec_lo, s16
	s_add_u32 s14, s14, 0x100
	s_addc_u32 s15, s15, 0
	v_add_co_u32 v4, vcc_lo, v4, s12
	v_cmp_ge_i64_e64 s16, s[14:15], s[10:11]
	v_add_co_ci_u32_e64 v5, null, s13, v5, vcc_lo
	s_and_b32 vcc_lo, exec_lo, s16
	s_cbranch_vccnz .LBB31_7
.LBB31_4:                               ; =>This Inner Loop Header: Depth=1
	v_add_co_u32 v6, s16, v0, s14
	v_add_co_ci_u32_e64 v7, null, 0, s15, s16
	s_mov_b32 s16, exec_lo
	v_cmpx_gt_i64_e64 s[8:9], v[6:7]
	s_cbranch_execz .LBB31_3
; %bb.5:                                ;   in Loop: Header=BB31_4 Depth=1
	global_load_dwordx2 v[6:7], v[4:5], off
	s_waitcnt vmcnt(0)
	v_cmp_neq_f64_e32 vcc_lo, 0, v[6:7]
	v_cndmask_b32_e64 v6, 0, 1, vcc_lo
	v_add_co_u32 v2, vcc_lo, v2, v6
	v_add_co_ci_u32_e64 v3, null, 0, v3, vcc_lo
	s_branch .LBB31_3
.LBB31_6:
                                        ; implicit-def: $vgpr2_vgpr3
	s_load_dwordx2 s[4:5], s[4:5], 0x28
	s_cbranch_execnz .LBB31_10
	s_branch .LBB31_16
.LBB31_7:
	s_inst_prefetch 0x2
	v_add_co_u32 v4, s12, s10, v0
	v_add_co_ci_u32_e64 v5, null, s11, 0, s12
	s_mov_b32 s12, exec_lo
	v_cmpx_gt_i64_e64 s[8:9], v[4:5]
	s_cbranch_execz .LBB31_9
; %bb.8:
	v_mul_lo_u32 v6, v5, s2
	v_mul_lo_u32 v7, v4, s3
	v_mad_u64_u32 v[4:5], null, v4, s2, 0
	s_lshl_b64 s[14:15], s[6:7], 3
	v_add3_u32 v5, v5, v7, v6
	v_lshlrev_b64 v[4:5], 3, v[4:5]
	v_add_co_u32 v4, vcc_lo, s0, v4
	v_add_co_ci_u32_e64 v5, null, s1, v5, vcc_lo
	v_add_co_u32 v4, vcc_lo, v4, s14
	v_add_co_ci_u32_e64 v5, null, s15, v5, vcc_lo
	global_load_dwordx2 v[4:5], v[4:5], off
	s_waitcnt vmcnt(0)
	v_cmp_neq_f64_e32 vcc_lo, 0, v[4:5]
	v_cndmask_b32_e64 v4, 0, 1, vcc_lo
	v_add_co_u32 v2, vcc_lo, v2, v4
	v_add_co_ci_u32_e64 v3, null, 0, v3, vcc_lo
.LBB31_9:
	s_or_b32 exec_lo, exec_lo, s12
	s_load_dwordx2 s[4:5], s[4:5], 0x28
	s_branch .LBB31_16
.LBB31_10:
	v_cmp_gt_i64_e32 vcc_lo, s[8:9], v[0:1]
	s_mul_i32 s3, s3, s6
	s_mul_hi_u32 s12, s2, s6
	s_mul_i32 s2, s2, s6
	s_add_i32 s3, s12, s3
	v_mov_b32_e32 v2, 0
	v_cndmask_b32_e32 v1, 0, v0, vcc_lo
	s_lshl_b64 s[2:3], s[2:3], 3
	v_mov_b32_e32 v3, 0
	s_add_u32 s0, s0, s2
	v_cmp_gt_i64_e64 s2, 0x100, s[8:9]
	v_lshlrev_b32_e32 v1, 3, v1
	s_addc_u32 s1, s1, s3
	s_and_b32 vcc_lo, exec_lo, s2
	v_add_co_u32 v4, s0, s0, v1
	v_add_co_ci_u32_e64 v5, null, s1, 0, s0
	s_cbranch_vccnz .LBB31_13
; %bb.11:
	v_mov_b32_e32 v2, 0
	v_mov_b32_e32 v7, v5
	;; [unrolled: 1-line block ×4, first 2 shown]
	s_mov_b64 s[2:3], 0
	.p2align	6
.LBB31_12:                              ; =>This Inner Loop Header: Depth=1
	global_load_dwordx2 v[8:9], v[6:7], off
	v_add_co_u32 v6, vcc_lo, 0x800, v6
	v_add_co_ci_u32_e64 v7, null, 0, v7, vcc_lo
	s_add_u32 s2, s2, 0x100
	s_addc_u32 s3, s3, 0
	v_cmp_ge_i64_e64 s0, s[2:3], s[10:11]
	s_waitcnt vmcnt(0)
	v_cmp_neq_f64_e32 vcc_lo, 0, v[8:9]
	v_cndmask_b32_e64 v1, 0, 1, vcc_lo
	s_and_b32 vcc_lo, exec_lo, s0
	v_add_co_u32 v2, s0, v2, v1
	v_add_co_ci_u32_e64 v3, null, 0, v3, s0
	s_cbranch_vccz .LBB31_12
.LBB31_13:
	v_add_co_u32 v6, s0, s10, v0
	v_add_co_ci_u32_e64 v7, null, s11, 0, s0
	s_mov_b32 s0, exec_lo
	v_cmpx_gt_i64_e64 s[8:9], v[6:7]
	s_cbranch_execz .LBB31_15
; %bb.14:
	s_lshl_b64 s[2:3], s[10:11], 3
	v_add_co_u32 v4, vcc_lo, v4, s2
	v_add_co_ci_u32_e64 v5, null, s3, v5, vcc_lo
	global_load_dwordx2 v[4:5], v[4:5], off
	s_waitcnt vmcnt(0)
	v_cmp_neq_f64_e32 vcc_lo, 0, v[4:5]
	v_cndmask_b32_e64 v1, 0, 1, vcc_lo
	v_add_co_u32 v2, vcc_lo, v2, v1
	v_add_co_ci_u32_e64 v3, null, 0, v3, vcc_lo
.LBB31_15:
	s_or_b32 exec_lo, exec_lo, s0
.LBB31_16:
	v_cmp_gt_i64_e64 s0, 0x100, s[8:9]
	v_lshlrev_b32_e32 v4, 3, v0
	s_mov_b32 s1, -1
	ds_write_b64 v4, v[2:3]
	s_and_b32 vcc_lo, exec_lo, s0
	v_cmp_eq_u32_e64 s0, 0, v0
	s_waitcnt lgkmcnt(0)
	s_cbranch_vccz .LBB31_26
; %bb.17:
	v_cmp_gt_i64_e64 s1, s[8:9], 1
	s_mov_b64 s[2:3], 1
	s_barrier
	buffer_gl0_inv
	s_and_b32 s0, s0, s1
	s_and_saveexec_b32 s3, s0
	s_cbranch_execz .LBB31_25
; %bb.18:
	v_mov_b32_e32 v1, 0
	s_add_u32 s10, s8, -1
	s_addc_u32 s1, s9, -1
	s_add_u32 s8, s8, -2
	s_addc_u32 s9, s9, -1
	ds_read_b64 v[1:2], v1
	v_cmp_lt_u64_e64 s0, s[8:9], 7
	s_and_b32 vcc_lo, exec_lo, s0
	s_cbranch_vccnz .LBB31_21
; %bb.19:
	s_and_b32 s0, s10, -8
	s_mov_b64 s[8:9], 0
	s_mov_b32 s11, 8
	s_inst_prefetch 0x1
	.p2align	6
.LBB31_20:                              ; =>This Inner Loop Header: Depth=1
	v_mov_b32_e32 v3, s11
	s_add_u32 s12, s8, 8
	s_addc_u32 s13, s9, 0
	s_add_i32 s11, s11, 64
	s_add_u32 s2, s8, 9
	ds_read2_b64 v[5:8], v3 offset1:1
	ds_read2_b64 v[9:12], v3 offset0:2 offset1:3
	ds_read2_b64 v[13:16], v3 offset0:4 offset1:5
	s_cmp_lg_u64 s[0:1], s[12:13]
	s_mov_b64 s[8:9], s[12:13]
	s_waitcnt lgkmcnt(2)
	v_add_co_u32 v1, vcc_lo, v1, v5
	v_add_co_ci_u32_e64 v2, null, v2, v6, vcc_lo
	v_add_co_u32 v1, vcc_lo, v1, v7
	v_add_co_ci_u32_e64 v2, null, v2, v8, vcc_lo
	ds_read2_b64 v[5:8], v3 offset0:6 offset1:7
	s_waitcnt lgkmcnt(2)
	v_add_co_u32 v1, vcc_lo, v1, v9
	v_add_co_ci_u32_e64 v2, null, v2, v10, vcc_lo
	v_add_co_u32 v1, vcc_lo, v1, v11
	v_add_co_ci_u32_e64 v2, null, v2, v12, vcc_lo
	s_waitcnt lgkmcnt(1)
	v_add_co_u32 v1, vcc_lo, v1, v13
	v_add_co_ci_u32_e64 v2, null, v2, v14, vcc_lo
	v_add_co_u32 v1, vcc_lo, v1, v15
	v_add_co_ci_u32_e64 v2, null, v2, v16, vcc_lo
	;; [unrolled: 5-line block ×3, first 2 shown]
	s_cbranch_scc1 .LBB31_20
.LBB31_21:
	s_inst_prefetch 0x2
	s_and_b32 s0, s10, 7
	s_mov_b32 s1, 0
	s_cmp_eq_u64 s[0:1], 0
	s_cbranch_scc1 .LBB31_24
; %bb.22:
	s_lshl_b32 s2, s2, 3
.LBB31_23:                              ; =>This Inner Loop Header: Depth=1
	v_mov_b32_e32 v3, s2
	s_add_i32 s2, s2, 8
	s_add_u32 s0, s0, -1
	s_addc_u32 s1, s1, -1
	s_cmp_lg_u64 s[0:1], 0
	ds_read_b64 v[5:6], v3
	s_waitcnt lgkmcnt(0)
	v_add_co_u32 v1, vcc_lo, v1, v5
	v_add_co_ci_u32_e64 v2, null, v2, v6, vcc_lo
	s_cbranch_scc1 .LBB31_23
.LBB31_24:
	v_mov_b32_e32 v3, 0
	s_waitcnt lgkmcnt(0)
	ds_write_b64 v3, v[1:2]
.LBB31_25:
	s_or_b32 exec_lo, exec_lo, s3
	s_mov_b32 s1, 0
	s_waitcnt lgkmcnt(0)
	s_barrier
.LBB31_26:
	s_and_b32 vcc_lo, exec_lo, s1
	s_cbranch_vccz .LBB31_44
; %bb.27:
	s_mov_b32 s0, exec_lo
	s_barrier
	buffer_gl0_inv
	v_cmpx_gt_u32_e32 0x80, v0
	s_cbranch_execz .LBB31_29
; %bb.28:
	ds_read2st64_b64 v[5:8], v4 offset1:2
	s_waitcnt lgkmcnt(0)
	v_add_co_u32 v1, vcc_lo, v5, v7
	v_add_co_ci_u32_e64 v2, null, v6, v8, vcc_lo
	ds_write_b64 v4, v[1:2]
.LBB31_29:
	s_or_b32 exec_lo, exec_lo, s0
	s_mov_b32 s0, exec_lo
	s_waitcnt lgkmcnt(0)
	s_barrier
	buffer_gl0_inv
	v_cmpx_gt_u32_e32 64, v0
	s_cbranch_execz .LBB31_31
; %bb.30:
	ds_read2st64_b64 v[5:8], v4 offset1:1
	s_waitcnt lgkmcnt(0)
	v_add_co_u32 v1, vcc_lo, v5, v7
	v_add_co_ci_u32_e64 v2, null, v6, v8, vcc_lo
	ds_write_b64 v4, v[1:2]
.LBB31_31:
	s_or_b32 exec_lo, exec_lo, s0
	s_mov_b32 s0, exec_lo
	s_waitcnt lgkmcnt(0)
	s_barrier
	buffer_gl0_inv
	v_cmpx_gt_u32_e32 32, v0
	s_cbranch_execz .LBB31_33
; %bb.32:
	ds_read2_b64 v[5:8], v4 offset1:32
	s_waitcnt lgkmcnt(0)
	v_add_co_u32 v1, vcc_lo, v5, v7
	v_add_co_ci_u32_e64 v2, null, v6, v8, vcc_lo
	ds_write_b64 v4, v[1:2]
.LBB31_33:
	s_or_b32 exec_lo, exec_lo, s0
	s_mov_b32 s0, exec_lo
	s_waitcnt lgkmcnt(0)
	s_barrier
	buffer_gl0_inv
	v_cmpx_gt_u32_e32 16, v0
	s_cbranch_execz .LBB31_35
; %bb.34:
	ds_read2_b64 v[5:8], v4 offset1:16
	s_waitcnt lgkmcnt(0)
	v_add_co_u32 v1, vcc_lo, v5, v7
	v_add_co_ci_u32_e64 v2, null, v6, v8, vcc_lo
	ds_write_b64 v4, v[1:2]
.LBB31_35:
	;; [unrolled: 14-line block ×5, first 2 shown]
	s_or_b32 exec_lo, exec_lo, s0
	s_mov_b32 s0, exec_lo
	s_waitcnt lgkmcnt(0)
	s_barrier
	buffer_gl0_inv
	v_cmpx_eq_u32_e32 0, v0
	s_cbranch_execz .LBB31_43
; %bb.42:
	v_mov_b32_e32 v5, 0
	ds_read_b128 v[1:4], v5
	s_waitcnt lgkmcnt(0)
	v_add_co_u32 v1, vcc_lo, v1, v3
	v_add_co_ci_u32_e64 v2, null, v2, v4, vcc_lo
	ds_write_b64 v5, v[1:2]
.LBB31_43:
	s_or_b32 exec_lo, exec_lo, s0
	s_waitcnt lgkmcnt(0)
	s_barrier
.LBB31_44:
	buffer_gl0_inv
	s_mov_b32 s0, exec_lo
	v_cmpx_eq_u32_e32 0, v0
	s_cbranch_execz .LBB31_46
; %bb.45:
	v_mov_b32_e32 v2, 0
	s_lshl_b64 s[0:1], s[6:7], 3
	s_add_u32 s0, s4, s0
	s_addc_u32 s1, s5, s1
	ds_read_b64 v[0:1], v2
	s_waitcnt lgkmcnt(0)
	global_store_dwordx2 v2, v[0:1], s[0:1]
.LBB31_46:
	s_endpgm
	.section	.rodata,"a",@progbits
	.p2align	6, 0x0
	.amdhsa_kernel _ZN9rocsparseL14nnz_kernel_colILi256ElldEEv16rocsparse_order_T1_S2_PKT2_lPT0_
		.amdhsa_group_segment_fixed_size 2048
		.amdhsa_private_segment_fixed_size 0
		.amdhsa_kernarg_size 48
		.amdhsa_user_sgpr_count 6
		.amdhsa_user_sgpr_private_segment_buffer 1
		.amdhsa_user_sgpr_dispatch_ptr 0
		.amdhsa_user_sgpr_queue_ptr 0
		.amdhsa_user_sgpr_kernarg_segment_ptr 1
		.amdhsa_user_sgpr_dispatch_id 0
		.amdhsa_user_sgpr_flat_scratch_init 0
		.amdhsa_user_sgpr_private_segment_size 0
		.amdhsa_wavefront_size32 1
		.amdhsa_uses_dynamic_stack 0
		.amdhsa_system_sgpr_private_segment_wavefront_offset 0
		.amdhsa_system_sgpr_workgroup_id_x 1
		.amdhsa_system_sgpr_workgroup_id_y 0
		.amdhsa_system_sgpr_workgroup_id_z 0
		.amdhsa_system_sgpr_workgroup_info 0
		.amdhsa_system_vgpr_workitem_id 0
		.amdhsa_next_free_vgpr 17
		.amdhsa_next_free_sgpr 17
		.amdhsa_reserve_vcc 1
		.amdhsa_reserve_flat_scratch 0
		.amdhsa_float_round_mode_32 0
		.amdhsa_float_round_mode_16_64 0
		.amdhsa_float_denorm_mode_32 3
		.amdhsa_float_denorm_mode_16_64 3
		.amdhsa_dx10_clamp 1
		.amdhsa_ieee_mode 1
		.amdhsa_fp16_overflow 0
		.amdhsa_workgroup_processor_mode 1
		.amdhsa_memory_ordered 1
		.amdhsa_forward_progress 1
		.amdhsa_shared_vgpr_count 0
		.amdhsa_exception_fp_ieee_invalid_op 0
		.amdhsa_exception_fp_denorm_src 0
		.amdhsa_exception_fp_ieee_div_zero 0
		.amdhsa_exception_fp_ieee_overflow 0
		.amdhsa_exception_fp_ieee_underflow 0
		.amdhsa_exception_fp_ieee_inexact 0
		.amdhsa_exception_int_div_zero 0
	.end_amdhsa_kernel
	.section	.text._ZN9rocsparseL14nnz_kernel_colILi256ElldEEv16rocsparse_order_T1_S2_PKT2_lPT0_,"axG",@progbits,_ZN9rocsparseL14nnz_kernel_colILi256ElldEEv16rocsparse_order_T1_S2_PKT2_lPT0_,comdat
.Lfunc_end31:
	.size	_ZN9rocsparseL14nnz_kernel_colILi256ElldEEv16rocsparse_order_T1_S2_PKT2_lPT0_, .Lfunc_end31-_ZN9rocsparseL14nnz_kernel_colILi256ElldEEv16rocsparse_order_T1_S2_PKT2_lPT0_
                                        ; -- End function
	.set _ZN9rocsparseL14nnz_kernel_colILi256ElldEEv16rocsparse_order_T1_S2_PKT2_lPT0_.num_vgpr, 17
	.set _ZN9rocsparseL14nnz_kernel_colILi256ElldEEv16rocsparse_order_T1_S2_PKT2_lPT0_.num_agpr, 0
	.set _ZN9rocsparseL14nnz_kernel_colILi256ElldEEv16rocsparse_order_T1_S2_PKT2_lPT0_.numbered_sgpr, 17
	.set _ZN9rocsparseL14nnz_kernel_colILi256ElldEEv16rocsparse_order_T1_S2_PKT2_lPT0_.num_named_barrier, 0
	.set _ZN9rocsparseL14nnz_kernel_colILi256ElldEEv16rocsparse_order_T1_S2_PKT2_lPT0_.private_seg_size, 0
	.set _ZN9rocsparseL14nnz_kernel_colILi256ElldEEv16rocsparse_order_T1_S2_PKT2_lPT0_.uses_vcc, 1
	.set _ZN9rocsparseL14nnz_kernel_colILi256ElldEEv16rocsparse_order_T1_S2_PKT2_lPT0_.uses_flat_scratch, 0
	.set _ZN9rocsparseL14nnz_kernel_colILi256ElldEEv16rocsparse_order_T1_S2_PKT2_lPT0_.has_dyn_sized_stack, 0
	.set _ZN9rocsparseL14nnz_kernel_colILi256ElldEEv16rocsparse_order_T1_S2_PKT2_lPT0_.has_recursion, 0
	.set _ZN9rocsparseL14nnz_kernel_colILi256ElldEEv16rocsparse_order_T1_S2_PKT2_lPT0_.has_indirect_call, 0
	.section	.AMDGPU.csdata,"",@progbits
; Kernel info:
; codeLenInByte = 1964
; TotalNumSgprs: 19
; NumVgprs: 17
; ScratchSize: 0
; MemoryBound: 0
; FloatMode: 240
; IeeeMode: 1
; LDSByteSize: 2048 bytes/workgroup (compile time only)
; SGPRBlocks: 0
; VGPRBlocks: 2
; NumSGPRsForWavesPerEU: 19
; NumVGPRsForWavesPerEU: 17
; Occupancy: 16
; WaveLimiterHint : 0
; COMPUTE_PGM_RSRC2:SCRATCH_EN: 0
; COMPUTE_PGM_RSRC2:USER_SGPR: 6
; COMPUTE_PGM_RSRC2:TRAP_HANDLER: 0
; COMPUTE_PGM_RSRC2:TGID_X_EN: 1
; COMPUTE_PGM_RSRC2:TGID_Y_EN: 0
; COMPUTE_PGM_RSRC2:TGID_Z_EN: 0
; COMPUTE_PGM_RSRC2:TIDIG_COMP_CNT: 0
	.section	.text._ZN9rocsparseL14nnz_kernel_rowILi64ELi16Ell21rocsparse_complex_numIfEEEv16rocsparse_order_T2_S4_PKT3_lPT1_,"axG",@progbits,_ZN9rocsparseL14nnz_kernel_rowILi64ELi16Ell21rocsparse_complex_numIfEEEv16rocsparse_order_T2_S4_PKT3_lPT1_,comdat
	.globl	_ZN9rocsparseL14nnz_kernel_rowILi64ELi16Ell21rocsparse_complex_numIfEEEv16rocsparse_order_T2_S4_PKT3_lPT1_ ; -- Begin function _ZN9rocsparseL14nnz_kernel_rowILi64ELi16Ell21rocsparse_complex_numIfEEEv16rocsparse_order_T2_S4_PKT3_lPT1_
	.p2align	8
	.type	_ZN9rocsparseL14nnz_kernel_rowILi64ELi16Ell21rocsparse_complex_numIfEEEv16rocsparse_order_T2_S4_PKT3_lPT1_,@function
_ZN9rocsparseL14nnz_kernel_rowILi64ELi16Ell21rocsparse_complex_numIfEEEv16rocsparse_order_T2_S4_PKT3_lPT1_: ; @_ZN9rocsparseL14nnz_kernel_rowILi64ELi16Ell21rocsparse_complex_numIfEEEv16rocsparse_order_T2_S4_PKT3_lPT1_
; %bb.0:
	s_clause 0x3
	s_load_dword s0, s[4:5], 0x3c
	s_load_dwordx8 s[8:15], s[4:5], 0x8
	s_load_dwordx2 s[16:17], s[4:5], 0x28
	s_load_dword s23, s[4:5], 0x0
	s_lshl_b32 s22, s6, 8
	v_mov_b32_e32 v21, 0
	s_mov_b32 s25, 0
	s_mov_b32 s24, exec_lo
	v_mov_b32_e32 v19, v21
	v_mov_b32_e32 v2, v21
	;; [unrolled: 1-line block ×9, first 2 shown]
	s_waitcnt lgkmcnt(0)
	s_and_b32 s0, s0, 0xffff
	v_mad_u32_u24 v32, v1, s0, v0
	s_ashr_i32 s0, s11, 31
	s_lshr_b32 s0, s0, 26
	s_add_u32 s0, s10, s0
	v_and_b32_e32 v33, 63, v32
	v_lshrrev_b32_e32 v0, 4, v32
	s_addc_u32 s19, s11, 0
	s_and_b32 s18, s0, 0xffffffc0
	v_or_b32_e32 v20, s22, v33
	v_and_b32_e32 v18, 0x7ffffc, v0
	s_sub_u32 s6, s10, s18
	s_subb_u32 s7, s11, s19
	v_or_b32_e32 v24, 64, v20
	v_or_b32_e32 v22, 0x80, v20
	;; [unrolled: 1-line block ×3, first 2 shown]
	v_cmpx_gt_i64_e64 s[18:19], v[18:19]
	s_cbranch_execz .LBB32_28
; %bb.1:
	v_add_co_u32 v2, s0, s22, v33
	v_add_co_ci_u32_e64 v3, null, 0, 0, s0
	v_mov_b32_e32 v1, v21
	v_mul_lo_u32 v6, s15, v2
	v_mad_u64_u32 v[4:5], null, s14, v2, 0
	v_mul_lo_u32 v7, s14, v3
	v_add_co_u32 v8, vcc_lo, v2, 64
	v_add_co_ci_u32_e64 v9, null, 0, v3, vcc_lo
	v_lshrrev_b32_e32 v14, 6, v32
	v_cmp_gt_i64_e64 s3, s[8:9], v[0:1]
	v_mul_lo_u32 v1, s15, v8
	v_add3_u32 v5, v5, v7, v6
	v_mul_lo_u32 v9, s14, v9
	v_mad_u64_u32 v[6:7], null, s14, v8, 0
	v_add_co_u32 v8, vcc_lo, 0x80, v2
	v_lshlrev_b64 v[4:5], 3, v[4:5]
	v_mov_b32_e32 v23, v21
	v_lshlrev_b32_e32 v16, 5, v14
	v_add_co_ci_u32_e64 v10, null, 0, v3, vcc_lo
	v_add3_u32 v7, v7, v9, v1
	v_cmp_gt_i64_e64 s2, s[8:9], v[22:23]
	v_add_co_u32 v23, vcc_lo, v4, v16
	v_mul_lo_u32 v1, s15, v8
	v_mul_lo_u32 v10, s14, v10
	v_mad_u64_u32 v[8:9], null, s14, v8, 0
	v_add_co_ci_u32_e64 v29, null, 0, v5, vcc_lo
	v_add_co_u32 v11, vcc_lo, 0xc0, v2
	v_mov_b32_e32 v25, v21
	v_add_co_ci_u32_e64 v12, null, 0, v3, vcc_lo
	v_add3_u32 v9, v9, v10, v1
	v_mul_lo_u32 v15, s15, v11
	v_cmp_gt_i64_e64 s1, s[8:9], v[24:25]
	v_mul_lo_u32 v25, s14, v12
	v_mad_u64_u32 v[10:11], null, s14, v11, 0
	v_lshlrev_b64 v[4:5], 3, v[6:7]
	v_mad_u64_u32 v[12:13], null, s14, v14, 0
	v_lshlrev_b64 v[6:7], 3, v[2:3]
	v_or_b32_e32 v17, 24, v16
	v_or_b32_e32 v36, 8, v16
	v_add_co_u32 v30, vcc_lo, v4, v16
	v_lshlrev_b64 v[3:4], 3, v[8:9]
	v_add3_u32 v11, v11, v25, v15
	v_or_b32_e32 v15, 16, v16
	v_add_co_ci_u32_e64 v31, null, 0, v5, vcc_lo
	v_mov_b32_e32 v5, v13
	v_mad_u64_u32 v[1:2], null, s14, v17, v[6:7]
	v_mad_u64_u32 v[25:26], null, s14, v15, v[6:7]
	;; [unrolled: 1-line block ×4, first 2 shown]
	v_add_co_u32 v34, vcc_lo, v3, v16
	v_add_co_ci_u32_e64 v35, null, 0, v4, vcc_lo
	v_lshlrev_b64 v[3:4], 3, v[10:11]
	v_mov_b32_e32 v5, v26
	v_mov_b32_e32 v13, v8
	v_cmp_gt_i64_e64 s0, s[8:9], v[20:21]
	v_mov_b32_e32 v8, v21
	s_cmp_lg_u32 s23, 1
	v_mad_u64_u32 v[9:10], null, s15, v17, v[2:3]
	v_mov_b32_e32 v2, v28
	v_mad_u64_u32 v[10:11], null, s15, v15, v[5:6]
	v_lshlrev_b64 v[11:12], 5, v[12:13]
	v_add_co_u32 v26, vcc_lo, v3, v16
	v_mad_u64_u32 v[14:15], null, s15, v36, v[2:3]
	v_add_co_ci_u32_e64 v28, null, 0, v4, vcc_lo
	v_add_co_u32 v39, vcc_lo, v11, v6
	v_mov_b32_e32 v36, v9
	v_mov_b32_e32 v37, v10
	;; [unrolled: 1-line block ×3, first 2 shown]
	v_add_co_ci_u32_e64 v40, null, v12, v7, vcc_lo
	v_mov_b32_e32 v2, v21
	v_mov_b32_e32 v3, v21
	;; [unrolled: 1-line block ×7, first 2 shown]
	s_cselect_b32 s26, -1, 0
	s_lshl_b64 s[20:21], s[14:15], 9
	s_branch .LBB32_4
.LBB32_2:                               ;   in Loop: Header=BB32_4 Depth=1
	v_mov_b32_e32 v2, v10
	v_mov_b32_e32 v3, v11
	;; [unrolled: 1-line block ×8, first 2 shown]
.LBB32_3:                               ;   in Loop: Header=BB32_4 Depth=1
	s_or_b32 exec_lo, exec_lo, s27
	v_add_co_u32 v18, vcc_lo, v18, 64
	v_add_co_ci_u32_e64 v19, null, 0, v19, vcc_lo
	v_add_co_u32 v23, vcc_lo, 0x200, v23
	v_add_co_ci_u32_e64 v29, null, 0, v29, vcc_lo
	;; [unrolled: 2-line block ×8, first 2 shown]
	v_cmp_le_i64_e32 vcc_lo, s[18:19], v[18:19]
	v_add_co_u32 v39, s4, v39, s20
	v_add_co_ci_u32_e64 v40, null, s21, v40, s4
	s_or_b32 s25, vcc_lo, s25
	s_andn2_b32 exec_lo, exec_lo, s25
	s_cbranch_execz .LBB32_27
.LBB32_4:                               ; =>This Inner Loop Header: Depth=1
	s_and_saveexec_b32 s27, s0
	s_cbranch_execnz .LBB32_8
; %bb.5:                                ;   in Loop: Header=BB32_4 Depth=1
	s_or_b32 exec_lo, exec_lo, s27
	s_and_saveexec_b32 s27, s1
	s_cbranch_execnz .LBB32_13
.LBB32_6:                               ;   in Loop: Header=BB32_4 Depth=1
	s_or_b32 exec_lo, exec_lo, s27
	s_and_saveexec_b32 s27, s2
	s_cbranch_execnz .LBB32_18
.LBB32_7:                               ;   in Loop: Header=BB32_4 Depth=1
	s_or_b32 exec_lo, exec_lo, s27
	s_and_saveexec_b32 s27, s3
	s_cbranch_execz .LBB32_3
	s_branch .LBB32_23
.LBB32_8:                               ;   in Loop: Header=BB32_4 Depth=1
	s_andn2_b32 vcc_lo, exec_lo, s26
	s_mov_b32 s4, -1
                                        ; implicit-def: $vgpr10_vgpr11_vgpr12_vgpr13_vgpr14_vgpr15_vgpr16_vgpr17
	s_cbranch_vccnz .LBB32_10
; %bb.9:                                ;   in Loop: Header=BB32_4 Depth=1
	v_add_co_u32 v14, vcc_lo, s12, v23
	v_add_co_ci_u32_e64 v15, null, s13, v29, vcc_lo
	s_clause 0x1
	global_load_dwordx4 v[10:13], v[14:15], off
	global_load_dwordx4 v[14:17], v[14:15], off offset:16
	s_waitcnt vmcnt(1)
	v_cmp_neq_f32_e32 vcc_lo, 0, v10
	v_cmp_neq_f32_e64 s4, 0, v11
	v_add_co_u32 v10, s5, v2, 1
	v_add_co_ci_u32_e64 v11, null, 0, v3, s5
	s_or_b32 vcc_lo, vcc_lo, s4
	v_cmp_neq_f32_e64 s4, 0, v13
	v_cndmask_b32_e32 v10, v2, v10, vcc_lo
	v_cndmask_b32_e32 v11, v3, v11, vcc_lo
	v_cmp_neq_f32_e32 vcc_lo, 0, v12
	v_add_co_u32 v12, s5, v10, 1
	v_add_co_ci_u32_e64 v13, null, 0, v11, s5
	s_or_b32 vcc_lo, vcc_lo, s4
	s_waitcnt vmcnt(0)
	v_cmp_neq_f32_e64 s4, 0, v15
	v_cndmask_b32_e32 v10, v10, v12, vcc_lo
	v_cndmask_b32_e32 v11, v11, v13, vcc_lo
	v_cmp_neq_f32_e32 vcc_lo, 0, v14
	v_mov_b32_e32 v12, v4
	v_mov_b32_e32 v15, v7
	v_add_co_u32 v13, s5, v10, 1
	v_add_co_ci_u32_e64 v14, null, 0, v11, s5
	s_or_b32 vcc_lo, vcc_lo, s4
	v_cmp_neq_f32_e64 s4, 0, v17
	v_cndmask_b32_e32 v10, v10, v13, vcc_lo
	v_cndmask_b32_e32 v11, v11, v14, vcc_lo
	v_cmp_neq_f32_e32 vcc_lo, 0, v16
	v_mov_b32_e32 v13, v5
	v_mov_b32_e32 v14, v6
	v_add_co_u32 v17, s5, v10, 1
	v_add_co_ci_u32_e64 v41, null, 0, v11, s5
	s_or_b32 vcc_lo, vcc_lo, s4
	v_mov_b32_e32 v16, v8
	v_cndmask_b32_e32 v10, v10, v17, vcc_lo
	v_cndmask_b32_e32 v11, v11, v41, vcc_lo
	v_mov_b32_e32 v17, v9
	s_mov_b32 s4, 0
.LBB32_10:                              ;   in Loop: Header=BB32_4 Depth=1
	s_andn2_b32 vcc_lo, exec_lo, s4
	s_cbranch_vccnz .LBB32_12
; %bb.11:                               ;   in Loop: Header=BB32_4 Depth=1
	v_add_co_u32 v10, vcc_lo, s12, v39
	v_add_co_ci_u32_e64 v11, null, s13, v40, vcc_lo
	v_add_co_u32 v12, vcc_lo, s12, v27
	v_add_co_ci_u32_e64 v13, null, s13, v38, vcc_lo
	global_load_dwordx2 v[10:11], v[10:11], off
	v_add_co_u32 v14, vcc_lo, s12, v25
	global_load_dwordx2 v[12:13], v[12:13], off
	v_add_co_ci_u32_e64 v15, null, s13, v37, vcc_lo
	v_add_co_u32 v16, vcc_lo, s12, v1
	v_add_co_ci_u32_e64 v17, null, s13, v36, vcc_lo
	s_clause 0x1
	global_load_dwordx2 v[14:15], v[14:15], off
	global_load_dwordx2 v[16:17], v[16:17], off
	s_waitcnt vmcnt(3)
	v_cmp_neq_f32_e32 vcc_lo, 0, v10
	v_cmp_neq_f32_e64 s4, 0, v11
	v_add_co_u32 v10, s5, v2, 1
	v_add_co_ci_u32_e64 v11, null, 0, v3, s5
	s_or_b32 vcc_lo, vcc_lo, s4
	s_waitcnt vmcnt(2)
	v_cmp_neq_f32_e64 s4, 0, v13
	v_cndmask_b32_e32 v2, v2, v10, vcc_lo
	v_cndmask_b32_e32 v3, v3, v11, vcc_lo
	v_cmp_neq_f32_e32 vcc_lo, 0, v12
	v_add_co_u32 v10, s5, v2, 1
	v_add_co_ci_u32_e64 v11, null, 0, v3, s5
	s_or_b32 vcc_lo, vcc_lo, s4
	s_waitcnt vmcnt(1)
	v_cmp_neq_f32_e64 s4, 0, v15
	v_cndmask_b32_e32 v2, v2, v10, vcc_lo
	v_cndmask_b32_e32 v3, v3, v11, vcc_lo
	v_cmp_neq_f32_e32 vcc_lo, 0, v14
	;; [unrolled: 8-line block ×3, first 2 shown]
	v_add_co_u32 v10, s5, v2, 1
	v_add_co_ci_u32_e64 v11, null, 0, v3, s5
	s_or_b32 vcc_lo, vcc_lo, s4
	v_cndmask_b32_e32 v2, v2, v10, vcc_lo
	v_cndmask_b32_e32 v3, v3, v11, vcc_lo
	v_mov_b32_e32 v17, v9
	v_mov_b32_e32 v16, v8
	;; [unrolled: 1-line block ×8, first 2 shown]
.LBB32_12:                              ;   in Loop: Header=BB32_4 Depth=1
	v_mov_b32_e32 v2, v10
	v_mov_b32_e32 v3, v11
	v_mov_b32_e32 v4, v12
	v_mov_b32_e32 v5, v13
	v_mov_b32_e32 v6, v14
	v_mov_b32_e32 v7, v15
	v_mov_b32_e32 v8, v16
	v_mov_b32_e32 v9, v17
	s_or_b32 exec_lo, exec_lo, s27
	s_and_saveexec_b32 s27, s1
	s_cbranch_execz .LBB32_6
.LBB32_13:                              ;   in Loop: Header=BB32_4 Depth=1
	s_andn2_b32 vcc_lo, exec_lo, s26
	s_mov_b32 s4, -1
                                        ; implicit-def: $vgpr10_vgpr11_vgpr12_vgpr13_vgpr14_vgpr15_vgpr16_vgpr17
	s_cbranch_vccnz .LBB32_15
; %bb.14:                               ;   in Loop: Header=BB32_4 Depth=1
	v_add_co_u32 v14, vcc_lo, s12, v30
	v_add_co_ci_u32_e64 v15, null, s13, v31, vcc_lo
	s_clause 0x1
	global_load_dwordx4 v[10:13], v[14:15], off
	global_load_dwordx4 v[14:17], v[14:15], off offset:16
	s_waitcnt vmcnt(1)
	v_cmp_neq_f32_e32 vcc_lo, 0, v10
	v_cmp_neq_f32_e64 s4, 0, v11
	v_add_co_u32 v10, s5, v4, 1
	v_add_co_ci_u32_e64 v11, null, 0, v5, s5
	s_or_b32 vcc_lo, vcc_lo, s4
	v_cmp_neq_f32_e64 s4, 0, v13
	v_cndmask_b32_e32 v10, v4, v10, vcc_lo
	v_cndmask_b32_e32 v11, v5, v11, vcc_lo
	v_cmp_neq_f32_e32 vcc_lo, 0, v12
	v_add_co_u32 v12, s5, v10, 1
	v_add_co_ci_u32_e64 v13, null, 0, v11, s5
	s_or_b32 vcc_lo, vcc_lo, s4
	s_waitcnt vmcnt(0)
	v_cmp_neq_f32_e64 s4, 0, v15
	v_cndmask_b32_e32 v12, v10, v12, vcc_lo
	v_cndmask_b32_e32 v11, v11, v13, vcc_lo
	v_cmp_neq_f32_e32 vcc_lo, 0, v14
	v_mov_b32_e32 v10, v2
	v_mov_b32_e32 v15, v7
	v_add_co_u32 v13, s5, v12, 1
	v_add_co_ci_u32_e64 v14, null, 0, v11, s5
	s_or_b32 vcc_lo, vcc_lo, s4
	v_cmp_neq_f32_e64 s4, 0, v17
	v_cndmask_b32_e32 v12, v12, v13, vcc_lo
	v_cndmask_b32_e32 v41, v11, v14, vcc_lo
	v_cmp_neq_f32_e32 vcc_lo, 0, v16
	v_mov_b32_e32 v11, v3
	v_mov_b32_e32 v14, v6
	v_add_co_u32 v17, s5, v12, 1
	v_add_co_ci_u32_e64 v13, null, 0, v41, s5
	s_or_b32 vcc_lo, vcc_lo, s4
	v_mov_b32_e32 v16, v8
	v_cndmask_b32_e32 v12, v12, v17, vcc_lo
	v_cndmask_b32_e32 v13, v41, v13, vcc_lo
	v_mov_b32_e32 v17, v9
	s_mov_b32 s4, 0
.LBB32_15:                              ;   in Loop: Header=BB32_4 Depth=1
	s_andn2_b32 vcc_lo, exec_lo, s4
	s_cbranch_vccnz .LBB32_17
; %bb.16:                               ;   in Loop: Header=BB32_4 Depth=1
	v_add_co_u32 v10, vcc_lo, s12, v39
	v_add_co_ci_u32_e64 v11, null, s13, v40, vcc_lo
	v_add_co_u32 v12, vcc_lo, s12, v27
	v_add_co_ci_u32_e64 v13, null, s13, v38, vcc_lo
	global_load_dwordx2 v[10:11], v[10:11], off offset:512
	v_add_co_u32 v14, vcc_lo, s12, v25
	global_load_dwordx2 v[12:13], v[12:13], off offset:512
	v_add_co_ci_u32_e64 v15, null, s13, v37, vcc_lo
	v_add_co_u32 v16, vcc_lo, s12, v1
	v_add_co_ci_u32_e64 v17, null, s13, v36, vcc_lo
	s_clause 0x1
	global_load_dwordx2 v[14:15], v[14:15], off offset:512
	global_load_dwordx2 v[16:17], v[16:17], off offset:512
	s_waitcnt vmcnt(3)
	v_cmp_neq_f32_e32 vcc_lo, 0, v10
	v_cmp_neq_f32_e64 s4, 0, v11
	v_add_co_u32 v10, s5, v4, 1
	v_add_co_ci_u32_e64 v11, null, 0, v5, s5
	s_or_b32 vcc_lo, vcc_lo, s4
	s_waitcnt vmcnt(2)
	v_cmp_neq_f32_e64 s4, 0, v13
	v_cndmask_b32_e32 v4, v4, v10, vcc_lo
	v_cndmask_b32_e32 v5, v5, v11, vcc_lo
	v_cmp_neq_f32_e32 vcc_lo, 0, v12
	v_add_co_u32 v10, s5, v4, 1
	v_add_co_ci_u32_e64 v11, null, 0, v5, s5
	s_or_b32 vcc_lo, vcc_lo, s4
	s_waitcnt vmcnt(1)
	v_cmp_neq_f32_e64 s4, 0, v15
	v_cndmask_b32_e32 v4, v4, v10, vcc_lo
	v_cndmask_b32_e32 v5, v5, v11, vcc_lo
	v_cmp_neq_f32_e32 vcc_lo, 0, v14
	v_add_co_u32 v10, s5, v4, 1
	v_add_co_ci_u32_e64 v11, null, 0, v5, s5
	s_or_b32 vcc_lo, vcc_lo, s4
	s_waitcnt vmcnt(0)
	v_cmp_neq_f32_e64 s4, 0, v17
	v_cndmask_b32_e32 v4, v4, v10, vcc_lo
	v_cndmask_b32_e32 v5, v5, v11, vcc_lo
	v_cmp_neq_f32_e32 vcc_lo, 0, v16
	v_add_co_u32 v10, s5, v4, 1
	v_add_co_ci_u32_e64 v11, null, 0, v5, s5
	s_or_b32 vcc_lo, vcc_lo, s4
	v_cndmask_b32_e32 v4, v4, v10, vcc_lo
	v_cndmask_b32_e32 v5, v5, v11, vcc_lo
	v_mov_b32_e32 v17, v9
	v_mov_b32_e32 v16, v8
	;; [unrolled: 1-line block ×8, first 2 shown]
.LBB32_17:                              ;   in Loop: Header=BB32_4 Depth=1
	v_mov_b32_e32 v2, v10
	v_mov_b32_e32 v3, v11
	;; [unrolled: 1-line block ×8, first 2 shown]
	s_or_b32 exec_lo, exec_lo, s27
	s_and_saveexec_b32 s27, s2
	s_cbranch_execz .LBB32_7
.LBB32_18:                              ;   in Loop: Header=BB32_4 Depth=1
	s_andn2_b32 vcc_lo, exec_lo, s26
	s_mov_b32 s4, -1
                                        ; implicit-def: $vgpr10_vgpr11_vgpr12_vgpr13_vgpr14_vgpr15_vgpr16_vgpr17
	s_cbranch_vccnz .LBB32_20
; %bb.19:                               ;   in Loop: Header=BB32_4 Depth=1
	v_add_co_u32 v14, vcc_lo, s12, v34
	v_add_co_ci_u32_e64 v15, null, s13, v35, vcc_lo
	s_clause 0x1
	global_load_dwordx4 v[10:13], v[14:15], off
	global_load_dwordx4 v[14:17], v[14:15], off offset:16
	s_waitcnt vmcnt(1)
	v_cmp_neq_f32_e32 vcc_lo, 0, v10
	v_cmp_neq_f32_e64 s4, 0, v11
	v_add_co_u32 v10, s5, v6, 1
	v_add_co_ci_u32_e64 v11, null, 0, v7, s5
	s_or_b32 vcc_lo, vcc_lo, s4
	v_cmp_neq_f32_e64 s4, 0, v13
	v_cndmask_b32_e32 v10, v6, v10, vcc_lo
	v_cndmask_b32_e32 v11, v7, v11, vcc_lo
	v_cmp_neq_f32_e32 vcc_lo, 0, v12
	v_add_co_u32 v12, s5, v10, 1
	v_add_co_ci_u32_e64 v13, null, 0, v11, s5
	s_or_b32 vcc_lo, vcc_lo, s4
	s_waitcnt vmcnt(0)
	v_cmp_neq_f32_e64 s4, 0, v15
	v_cndmask_b32_e32 v12, v10, v12, vcc_lo
	v_cndmask_b32_e32 v11, v11, v13, vcc_lo
	v_cmp_neq_f32_e32 vcc_lo, 0, v14
	v_mov_b32_e32 v10, v2
	v_add_co_u32 v13, s5, v12, 1
	v_add_co_ci_u32_e64 v14, null, 0, v11, s5
	s_or_b32 vcc_lo, vcc_lo, s4
	v_cmp_neq_f32_e64 s4, 0, v17
	v_cndmask_b32_e32 v41, v12, v13, vcc_lo
	v_cndmask_b32_e32 v14, v11, v14, vcc_lo
	v_cmp_neq_f32_e32 vcc_lo, 0, v16
	v_mov_b32_e32 v11, v3
	v_mov_b32_e32 v12, v4
	v_add_co_u32 v17, s5, v41, 1
	v_add_co_ci_u32_e64 v15, null, 0, v14, s5
	s_or_b32 vcc_lo, vcc_lo, s4
	v_mov_b32_e32 v13, v5
	v_mov_b32_e32 v16, v8
	v_cndmask_b32_e32 v15, v14, v15, vcc_lo
	v_cndmask_b32_e32 v14, v41, v17, vcc_lo
	v_mov_b32_e32 v17, v9
	s_mov_b32 s4, 0
.LBB32_20:                              ;   in Loop: Header=BB32_4 Depth=1
	s_andn2_b32 vcc_lo, exec_lo, s4
	s_cbranch_vccnz .LBB32_22
; %bb.21:                               ;   in Loop: Header=BB32_4 Depth=1
	v_add_co_u32 v10, vcc_lo, s12, v39
	v_add_co_ci_u32_e64 v11, null, s13, v40, vcc_lo
	v_add_co_u32 v12, vcc_lo, s12, v27
	v_add_co_ci_u32_e64 v13, null, s13, v38, vcc_lo
	global_load_dwordx2 v[10:11], v[10:11], off offset:1024
	v_add_co_u32 v14, vcc_lo, s12, v25
	global_load_dwordx2 v[12:13], v[12:13], off offset:1024
	v_add_co_ci_u32_e64 v15, null, s13, v37, vcc_lo
	v_add_co_u32 v16, vcc_lo, s12, v1
	v_add_co_ci_u32_e64 v17, null, s13, v36, vcc_lo
	s_clause 0x1
	global_load_dwordx2 v[14:15], v[14:15], off offset:1024
	global_load_dwordx2 v[16:17], v[16:17], off offset:1024
	s_waitcnt vmcnt(3)
	v_cmp_neq_f32_e32 vcc_lo, 0, v10
	v_cmp_neq_f32_e64 s4, 0, v11
	v_add_co_u32 v10, s5, v6, 1
	v_add_co_ci_u32_e64 v11, null, 0, v7, s5
	s_or_b32 vcc_lo, vcc_lo, s4
	s_waitcnt vmcnt(2)
	v_cmp_neq_f32_e64 s4, 0, v13
	v_cndmask_b32_e32 v6, v6, v10, vcc_lo
	v_cndmask_b32_e32 v7, v7, v11, vcc_lo
	v_cmp_neq_f32_e32 vcc_lo, 0, v12
	v_add_co_u32 v10, s5, v6, 1
	v_add_co_ci_u32_e64 v11, null, 0, v7, s5
	s_or_b32 vcc_lo, vcc_lo, s4
	s_waitcnt vmcnt(1)
	v_cmp_neq_f32_e64 s4, 0, v15
	v_cndmask_b32_e32 v6, v6, v10, vcc_lo
	v_cndmask_b32_e32 v7, v7, v11, vcc_lo
	v_cmp_neq_f32_e32 vcc_lo, 0, v14
	v_add_co_u32 v10, s5, v6, 1
	v_add_co_ci_u32_e64 v11, null, 0, v7, s5
	s_or_b32 vcc_lo, vcc_lo, s4
	s_waitcnt vmcnt(0)
	v_cmp_neq_f32_e64 s4, 0, v17
	v_cndmask_b32_e32 v6, v6, v10, vcc_lo
	v_cndmask_b32_e32 v7, v7, v11, vcc_lo
	v_cmp_neq_f32_e32 vcc_lo, 0, v16
	v_add_co_u32 v10, s5, v6, 1
	v_add_co_ci_u32_e64 v11, null, 0, v7, s5
	s_or_b32 vcc_lo, vcc_lo, s4
	v_cndmask_b32_e32 v6, v6, v10, vcc_lo
	v_cndmask_b32_e32 v7, v7, v11, vcc_lo
	v_mov_b32_e32 v17, v9
	v_mov_b32_e32 v16, v8
	;; [unrolled: 1-line block ×8, first 2 shown]
.LBB32_22:                              ;   in Loop: Header=BB32_4 Depth=1
	v_mov_b32_e32 v2, v10
	v_mov_b32_e32 v3, v11
	;; [unrolled: 1-line block ×8, first 2 shown]
	s_or_b32 exec_lo, exec_lo, s27
	s_and_saveexec_b32 s27, s3
	s_cbranch_execz .LBB32_3
.LBB32_23:                              ;   in Loop: Header=BB32_4 Depth=1
	s_andn2_b32 vcc_lo, exec_lo, s26
	s_mov_b32 s4, -1
                                        ; implicit-def: $vgpr10_vgpr11_vgpr12_vgpr13_vgpr14_vgpr15_vgpr16_vgpr17
	s_cbranch_vccnz .LBB32_25
; %bb.24:                               ;   in Loop: Header=BB32_4 Depth=1
	v_add_co_u32 v14, vcc_lo, s12, v26
	v_add_co_ci_u32_e64 v15, null, s13, v28, vcc_lo
	s_clause 0x1
	global_load_dwordx4 v[10:13], v[14:15], off
	global_load_dwordx4 v[14:17], v[14:15], off offset:16
	s_waitcnt vmcnt(1)
	v_cmp_neq_f32_e32 vcc_lo, 0, v10
	v_cmp_neq_f32_e64 s4, 0, v11
	v_add_co_u32 v10, s5, v8, 1
	v_add_co_ci_u32_e64 v11, null, 0, v9, s5
	s_or_b32 vcc_lo, vcc_lo, s4
	v_cmp_neq_f32_e64 s4, 0, v13
	v_cndmask_b32_e32 v10, v8, v10, vcc_lo
	v_cndmask_b32_e32 v11, v9, v11, vcc_lo
	v_cmp_neq_f32_e32 vcc_lo, 0, v12
	v_add_co_u32 v12, s5, v10, 1
	v_add_co_ci_u32_e64 v13, null, 0, v11, s5
	s_or_b32 vcc_lo, vcc_lo, s4
	s_waitcnt vmcnt(0)
	v_cmp_neq_f32_e64 s4, 0, v15
	v_cndmask_b32_e32 v12, v10, v12, vcc_lo
	v_cndmask_b32_e32 v11, v11, v13, vcc_lo
	v_cmp_neq_f32_e32 vcc_lo, 0, v14
	v_mov_b32_e32 v10, v2
	v_add_co_u32 v13, s5, v12, 1
	v_add_co_ci_u32_e64 v14, null, 0, v11, s5
	s_or_b32 vcc_lo, vcc_lo, s4
	v_cmp_neq_f32_e64 s4, 0, v17
	v_cndmask_b32_e32 v41, v12, v13, vcc_lo
	v_cndmask_b32_e32 v15, v11, v14, vcc_lo
	v_cmp_neq_f32_e32 vcc_lo, 0, v16
	v_mov_b32_e32 v11, v3
	v_mov_b32_e32 v12, v4
	v_add_co_u32 v16, s5, v41, 1
	v_add_co_ci_u32_e64 v17, null, 0, v15, s5
	s_or_b32 vcc_lo, vcc_lo, s4
	v_mov_b32_e32 v13, v5
	v_mov_b32_e32 v14, v6
	v_cndmask_b32_e32 v17, v15, v17, vcc_lo
	v_cndmask_b32_e32 v16, v41, v16, vcc_lo
	v_mov_b32_e32 v15, v7
	s_mov_b32 s4, 0
.LBB32_25:                              ;   in Loop: Header=BB32_4 Depth=1
	s_andn2_b32 vcc_lo, exec_lo, s4
	s_cbranch_vccnz .LBB32_2
; %bb.26:                               ;   in Loop: Header=BB32_4 Depth=1
	v_add_co_u32 v10, vcc_lo, s12, v39
	v_add_co_ci_u32_e64 v11, null, s13, v40, vcc_lo
	v_add_co_u32 v12, vcc_lo, s12, v27
	v_add_co_ci_u32_e64 v13, null, s13, v38, vcc_lo
	global_load_dwordx2 v[10:11], v[10:11], off offset:1536
	v_add_co_u32 v14, vcc_lo, s12, v25
	global_load_dwordx2 v[12:13], v[12:13], off offset:1536
	v_add_co_ci_u32_e64 v15, null, s13, v37, vcc_lo
	v_add_co_u32 v16, vcc_lo, s12, v1
	v_add_co_ci_u32_e64 v17, null, s13, v36, vcc_lo
	s_clause 0x1
	global_load_dwordx2 v[14:15], v[14:15], off offset:1536
	global_load_dwordx2 v[16:17], v[16:17], off offset:1536
	s_waitcnt vmcnt(3)
	v_cmp_neq_f32_e32 vcc_lo, 0, v10
	v_cmp_neq_f32_e64 s4, 0, v11
	v_add_co_u32 v10, s5, v8, 1
	v_add_co_ci_u32_e64 v11, null, 0, v9, s5
	s_or_b32 vcc_lo, vcc_lo, s4
	s_waitcnt vmcnt(2)
	v_cmp_neq_f32_e64 s4, 0, v13
	v_cndmask_b32_e32 v8, v8, v10, vcc_lo
	v_cndmask_b32_e32 v9, v9, v11, vcc_lo
	v_cmp_neq_f32_e32 vcc_lo, 0, v12
	v_add_co_u32 v10, s5, v8, 1
	v_add_co_ci_u32_e64 v11, null, 0, v9, s5
	s_or_b32 vcc_lo, vcc_lo, s4
	s_waitcnt vmcnt(1)
	v_cmp_neq_f32_e64 s4, 0, v15
	v_cndmask_b32_e32 v8, v8, v10, vcc_lo
	v_cndmask_b32_e32 v9, v9, v11, vcc_lo
	v_cmp_neq_f32_e32 vcc_lo, 0, v14
	;; [unrolled: 8-line block ×3, first 2 shown]
	v_add_co_u32 v10, s5, v8, 1
	v_add_co_ci_u32_e64 v11, null, 0, v9, s5
	s_or_b32 vcc_lo, vcc_lo, s4
	v_cndmask_b32_e32 v8, v8, v10, vcc_lo
	v_cndmask_b32_e32 v9, v9, v11, vcc_lo
	v_mov_b32_e32 v17, v9
	v_mov_b32_e32 v16, v8
	;; [unrolled: 1-line block ×8, first 2 shown]
	s_branch .LBB32_2
.LBB32_27:
	s_or_b32 exec_lo, exec_lo, s25
.LBB32_28:
	s_or_b32 exec_lo, exec_lo, s24
	v_cmp_lt_i64_e64 s0, s[6:7], 1
	s_and_b32 vcc_lo, exec_lo, s0
	s_cbranch_vccnz .LBB32_126
; %bb.29:
	v_lshlrev_b64 v[10:11], 3, v[18:19]
	s_cmp_eq_u32 s23, 1
	v_lshlrev_b64 v[26:27], 3, v[20:21]
	s_cselect_b32 s2, -1, 0
	s_cmp_lg_u32 s23, 1
	s_mov_b32 s3, exec_lo
	v_add_co_u32 v34, s0, s12, v10
	v_add_co_ci_u32_e64 v35, null, s13, v11, s0
	s_cselect_b32 s1, -1, 0
	v_cmpx_gt_i64_e64 s[8:9], v[20:21]
	s_cbranch_execz .LBB32_53
; %bb.30:
	v_mad_u64_u32 v[10:11], null, v20, s14, 0
	s_mov_b32 s4, exec_lo
	v_mov_b32_e32 v1, v11
	v_mad_u64_u32 v[11:12], null, v20, s15, v[1:2]
	v_lshlrev_b64 v[10:11], 3, v[10:11]
	v_add_co_u32 v28, s0, v34, v10
	v_add_co_ci_u32_e64 v29, null, v35, v11, s0
	v_add_co_u32 v1, s0, s12, v26
	v_add_co_ci_u32_e64 v20, null, s13, v27, s0
	v_cmpx_gt_i64_e64 s[10:11], v[18:19]
	s_cbranch_execz .LBB32_34
; %bb.31:
	v_mov_b32_e32 v10, v28
	v_mov_b32_e32 v11, v29
	s_andn2_b32 vcc_lo, exec_lo, s2
	s_cbranch_vccnz .LBB32_33
; %bb.32:
	v_mul_lo_u32 v12, v19, s14
	v_mul_lo_u32 v13, v18, s15
	v_mad_u64_u32 v[10:11], null, v18, s14, 0
	v_add3_u32 v11, v11, v13, v12
	v_lshlrev_b64 v[10:11], 3, v[10:11]
	v_add_co_u32 v10, vcc_lo, v1, v10
	v_add_co_ci_u32_e64 v11, null, v20, v11, vcc_lo
.LBB32_33:
	global_load_dwordx2 v[10:11], v[10:11], off
	s_waitcnt vmcnt(0)
	v_cmp_neq_f32_e32 vcc_lo, 0, v10
	v_cmp_neq_f32_e64 s0, 0, v11
	s_or_b32 s0, vcc_lo, s0
	v_cndmask_b32_e64 v10, 0, 1, s0
	v_add_co_u32 v2, vcc_lo, v2, v10
	v_add_co_ci_u32_e64 v3, null, 0, v3, vcc_lo
.LBB32_34:
	s_or_b32 exec_lo, exec_lo, s4
	v_or_b32_e32 v30, 1, v18
	v_mov_b32_e32 v31, v19
	s_mov_b32 s4, exec_lo
	v_cmpx_gt_i64_e64 s[10:11], v[30:31]
	s_cbranch_execz .LBB32_40
; %bb.35:
	s_andn2_b32 vcc_lo, exec_lo, s1
	s_cbranch_vccnz .LBB32_37
; %bb.36:
	global_load_dwordx2 v[10:11], v[28:29], off offset:8
	s_waitcnt vmcnt(0)
	v_cmp_neq_f32_e32 vcc_lo, 0, v10
	v_cmp_neq_f32_e64 s0, 0, v11
	s_or_b32 s0, vcc_lo, s0
	v_cndmask_b32_e64 v10, 0, 1, s0
	v_add_co_u32 v23, vcc_lo, v2, v10
	v_add_co_ci_u32_e64 v25, null, 0, v3, vcc_lo
	v_mov_b32_e32 v17, v9
	v_mov_b32_e32 v11, v3
	;; [unrolled: 1-line block ×10, first 2 shown]
	s_cbranch_execz .LBB32_38
	s_branch .LBB32_39
.LBB32_37:
                                        ; implicit-def: $vgpr10_vgpr11_vgpr12_vgpr13_vgpr14_vgpr15_vgpr16_vgpr17
.LBB32_38:
	v_mul_lo_u32 v12, v31, s14
	v_mul_lo_u32 v13, v30, s15
	v_mad_u64_u32 v[10:11], null, v30, s14, 0
	v_add3_u32 v11, v11, v13, v12
	v_lshlrev_b64 v[10:11], 3, v[10:11]
	v_add_co_u32 v10, vcc_lo, v1, v10
	v_add_co_ci_u32_e64 v11, null, v20, v11, vcc_lo
	global_load_dwordx2 v[10:11], v[10:11], off
	s_waitcnt vmcnt(0)
	v_cmp_neq_f32_e32 vcc_lo, 0, v10
	v_cmp_neq_f32_e64 s0, 0, v11
	s_or_b32 s0, vcc_lo, s0
	v_cndmask_b32_e64 v10, 0, 1, s0
	v_add_co_u32 v2, vcc_lo, v2, v10
	v_add_co_ci_u32_e64 v3, null, 0, v3, vcc_lo
	v_mov_b32_e32 v17, v9
	v_mov_b32_e32 v16, v8
	;; [unrolled: 1-line block ×8, first 2 shown]
.LBB32_39:
	v_mov_b32_e32 v2, v10
	v_mov_b32_e32 v3, v11
	;; [unrolled: 1-line block ×8, first 2 shown]
.LBB32_40:
	s_or_b32 exec_lo, exec_lo, s4
	v_or_b32_e32 v30, 2, v18
	v_mov_b32_e32 v31, v19
	s_mov_b32 s4, exec_lo
	v_cmpx_gt_i64_e64 s[10:11], v[30:31]
	s_cbranch_execz .LBB32_46
; %bb.41:
	s_andn2_b32 vcc_lo, exec_lo, s1
	s_cbranch_vccnz .LBB32_43
; %bb.42:
	global_load_dwordx2 v[10:11], v[28:29], off offset:16
	s_waitcnt vmcnt(0)
	v_cmp_neq_f32_e32 vcc_lo, 0, v10
	v_cmp_neq_f32_e64 s0, 0, v11
	s_or_b32 s0, vcc_lo, s0
	v_cndmask_b32_e64 v10, 0, 1, s0
	v_add_co_u32 v23, vcc_lo, v2, v10
	v_add_co_ci_u32_e64 v25, null, 0, v3, vcc_lo
	v_mov_b32_e32 v17, v9
	v_mov_b32_e32 v11, v3
	v_mov_b32_e32 v10, v2
	v_mov_b32_e32 v16, v8
	v_mov_b32_e32 v15, v7
	v_mov_b32_e32 v14, v6
	v_mov_b32_e32 v13, v5
	v_mov_b32_e32 v12, v4
	v_mov_b32_e32 v10, v23
	v_mov_b32_e32 v11, v25
	s_cbranch_execz .LBB32_44
	s_branch .LBB32_45
.LBB32_43:
                                        ; implicit-def: $vgpr10_vgpr11_vgpr12_vgpr13_vgpr14_vgpr15_vgpr16_vgpr17
.LBB32_44:
	v_mul_lo_u32 v12, v31, s14
	v_mul_lo_u32 v13, v30, s15
	v_mad_u64_u32 v[10:11], null, v30, s14, 0
	v_add3_u32 v11, v11, v13, v12
	v_lshlrev_b64 v[10:11], 3, v[10:11]
	v_add_co_u32 v10, vcc_lo, v1, v10
	v_add_co_ci_u32_e64 v11, null, v20, v11, vcc_lo
	global_load_dwordx2 v[10:11], v[10:11], off
	s_waitcnt vmcnt(0)
	v_cmp_neq_f32_e32 vcc_lo, 0, v10
	v_cmp_neq_f32_e64 s0, 0, v11
	s_or_b32 s0, vcc_lo, s0
	v_cndmask_b32_e64 v10, 0, 1, s0
	v_add_co_u32 v2, vcc_lo, v2, v10
	v_add_co_ci_u32_e64 v3, null, 0, v3, vcc_lo
	v_mov_b32_e32 v17, v9
	v_mov_b32_e32 v16, v8
	;; [unrolled: 1-line block ×8, first 2 shown]
.LBB32_45:
	v_mov_b32_e32 v2, v10
	v_mov_b32_e32 v3, v11
	;; [unrolled: 1-line block ×8, first 2 shown]
.LBB32_46:
	s_or_b32 exec_lo, exec_lo, s4
	v_or_b32_e32 v30, 3, v18
	v_mov_b32_e32 v31, v19
	s_mov_b32 s4, exec_lo
	v_cmpx_gt_i64_e64 s[10:11], v[30:31]
	s_cbranch_execz .LBB32_52
; %bb.47:
	s_andn2_b32 vcc_lo, exec_lo, s1
	s_cbranch_vccnz .LBB32_49
; %bb.48:
	global_load_dwordx2 v[10:11], v[28:29], off offset:24
	s_waitcnt vmcnt(0)
	v_cmp_neq_f32_e32 vcc_lo, 0, v10
	v_cmp_neq_f32_e64 s0, 0, v11
	s_or_b32 s0, vcc_lo, s0
	v_cndmask_b32_e64 v10, 0, 1, s0
	v_add_co_u32 v23, vcc_lo, v2, v10
	v_add_co_ci_u32_e64 v25, null, 0, v3, vcc_lo
	v_mov_b32_e32 v17, v9
	v_mov_b32_e32 v11, v3
	;; [unrolled: 1-line block ×10, first 2 shown]
	s_cbranch_execz .LBB32_50
	s_branch .LBB32_51
.LBB32_49:
                                        ; implicit-def: $vgpr10_vgpr11_vgpr12_vgpr13_vgpr14_vgpr15_vgpr16_vgpr17
.LBB32_50:
	v_mul_lo_u32 v12, v31, s14
	v_mul_lo_u32 v13, v30, s15
	v_mad_u64_u32 v[10:11], null, v30, s14, 0
	v_add3_u32 v11, v11, v13, v12
	v_lshlrev_b64 v[10:11], 3, v[10:11]
	v_add_co_u32 v10, vcc_lo, v1, v10
	v_add_co_ci_u32_e64 v11, null, v20, v11, vcc_lo
	global_load_dwordx2 v[10:11], v[10:11], off
	s_waitcnt vmcnt(0)
	v_cmp_neq_f32_e32 vcc_lo, 0, v10
	v_cmp_neq_f32_e64 s0, 0, v11
	s_or_b32 s0, vcc_lo, s0
	v_cndmask_b32_e64 v1, 0, 1, s0
	v_add_co_u32 v2, vcc_lo, v2, v1
	v_add_co_ci_u32_e64 v3, null, 0, v3, vcc_lo
	v_mov_b32_e32 v17, v9
	v_mov_b32_e32 v16, v8
	;; [unrolled: 1-line block ×8, first 2 shown]
.LBB32_51:
	v_mov_b32_e32 v2, v10
	v_mov_b32_e32 v3, v11
	;; [unrolled: 1-line block ×8, first 2 shown]
.LBB32_52:
	s_or_b32 exec_lo, exec_lo, s4
.LBB32_53:
	s_or_b32 exec_lo, exec_lo, s3
	v_mov_b32_e32 v25, v21
	s_mov_b32 s3, exec_lo
	v_cmpx_gt_i64_e64 s[8:9], v[24:25]
	s_cbranch_execz .LBB32_77
; %bb.54:
	v_mad_u64_u32 v[10:11], null, v24, s14, 0
	s_mov_b32 s4, exec_lo
	v_mov_b32_e32 v1, v11
	v_mad_u64_u32 v[11:12], null, v24, s15, v[1:2]
	v_lshlrev_b64 v[10:11], 3, v[10:11]
	v_add_co_u32 v23, s0, v34, v10
	v_add_co_ci_u32_e64 v24, null, v35, v11, s0
	v_add_co_u32 v1, s0, s12, v26
	v_add_co_ci_u32_e64 v20, null, s13, v27, s0
	v_cmpx_gt_i64_e64 s[10:11], v[18:19]
	s_cbranch_execz .LBB32_58
; %bb.55:
	v_mov_b32_e32 v10, v23
	v_mov_b32_e32 v11, v24
	s_andn2_b32 vcc_lo, exec_lo, s2
	s_cbranch_vccnz .LBB32_57
; %bb.56:
	v_mul_lo_u32 v12, v19, s14
	v_mul_lo_u32 v13, v18, s15
	v_mad_u64_u32 v[10:11], null, v18, s14, 0
	v_add3_u32 v11, v11, v13, v12
	v_lshlrev_b64 v[10:11], 3, v[10:11]
	v_add_co_u32 v10, vcc_lo, v1, v10
	v_add_co_ci_u32_e64 v11, null, v20, v11, vcc_lo
	v_add_co_u32 v10, vcc_lo, 0x200, v10
	v_add_co_ci_u32_e64 v11, null, 0, v11, vcc_lo
.LBB32_57:
	global_load_dwordx2 v[10:11], v[10:11], off
	s_waitcnt vmcnt(0)
	v_cmp_neq_f32_e32 vcc_lo, 0, v10
	v_cmp_neq_f32_e64 s0, 0, v11
	s_or_b32 s0, vcc_lo, s0
	v_cndmask_b32_e64 v10, 0, 1, s0
	v_add_co_u32 v4, vcc_lo, v4, v10
	v_add_co_ci_u32_e64 v5, null, 0, v5, vcc_lo
.LBB32_58:
	s_or_b32 exec_lo, exec_lo, s4
	v_or_b32_e32 v28, 1, v18
	v_mov_b32_e32 v29, v19
	s_mov_b32 s4, exec_lo
	v_cmpx_gt_i64_e64 s[10:11], v[28:29]
	s_cbranch_execz .LBB32_64
; %bb.59:
	s_andn2_b32 vcc_lo, exec_lo, s1
	s_cbranch_vccnz .LBB32_61
; %bb.60:
	global_load_dwordx2 v[10:11], v[23:24], off offset:8
	s_waitcnt vmcnt(0)
	v_cmp_neq_f32_e32 vcc_lo, 0, v10
	v_cmp_neq_f32_e64 s0, 0, v11
	s_or_b32 s0, vcc_lo, s0
	v_cndmask_b32_e64 v10, 0, 1, s0
	v_add_co_u32 v25, vcc_lo, v4, v10
	v_add_co_ci_u32_e64 v30, null, 0, v5, vcc_lo
	v_mov_b32_e32 v17, v9
	v_mov_b32_e32 v13, v5
	;; [unrolled: 1-line block ×10, first 2 shown]
	s_cbranch_execz .LBB32_62
	s_branch .LBB32_63
.LBB32_61:
                                        ; implicit-def: $vgpr10_vgpr11_vgpr12_vgpr13_vgpr14_vgpr15_vgpr16_vgpr17
.LBB32_62:
	v_mul_lo_u32 v12, v29, s14
	v_mul_lo_u32 v13, v28, s15
	v_mad_u64_u32 v[10:11], null, v28, s14, 0
	v_add3_u32 v11, v11, v13, v12
	v_lshlrev_b64 v[10:11], 3, v[10:11]
	v_add_co_u32 v10, vcc_lo, v1, v10
	v_add_co_ci_u32_e64 v11, null, v20, v11, vcc_lo
	global_load_dwordx2 v[10:11], v[10:11], off offset:512
	s_waitcnt vmcnt(0)
	v_cmp_neq_f32_e32 vcc_lo, 0, v10
	v_cmp_neq_f32_e64 s0, 0, v11
	s_or_b32 s0, vcc_lo, s0
	v_cndmask_b32_e64 v10, 0, 1, s0
	v_add_co_u32 v4, vcc_lo, v4, v10
	v_add_co_ci_u32_e64 v5, null, 0, v5, vcc_lo
	v_mov_b32_e32 v17, v9
	v_mov_b32_e32 v16, v8
	;; [unrolled: 1-line block ×8, first 2 shown]
.LBB32_63:
	v_mov_b32_e32 v2, v10
	v_mov_b32_e32 v3, v11
	;; [unrolled: 1-line block ×8, first 2 shown]
.LBB32_64:
	s_or_b32 exec_lo, exec_lo, s4
	v_or_b32_e32 v28, 2, v18
	v_mov_b32_e32 v29, v19
	s_mov_b32 s4, exec_lo
	v_cmpx_gt_i64_e64 s[10:11], v[28:29]
	s_cbranch_execz .LBB32_70
; %bb.65:
	s_andn2_b32 vcc_lo, exec_lo, s1
	s_cbranch_vccnz .LBB32_67
; %bb.66:
	global_load_dwordx2 v[10:11], v[23:24], off offset:16
	s_waitcnt vmcnt(0)
	v_cmp_neq_f32_e32 vcc_lo, 0, v10
	v_cmp_neq_f32_e64 s0, 0, v11
	s_or_b32 s0, vcc_lo, s0
	v_cndmask_b32_e64 v10, 0, 1, s0
	v_add_co_u32 v25, vcc_lo, v4, v10
	v_add_co_ci_u32_e64 v30, null, 0, v5, vcc_lo
	v_mov_b32_e32 v17, v9
	v_mov_b32_e32 v13, v5
	;; [unrolled: 1-line block ×10, first 2 shown]
	s_cbranch_execz .LBB32_68
	s_branch .LBB32_69
.LBB32_67:
                                        ; implicit-def: $vgpr10_vgpr11_vgpr12_vgpr13_vgpr14_vgpr15_vgpr16_vgpr17
.LBB32_68:
	v_mul_lo_u32 v12, v29, s14
	v_mul_lo_u32 v13, v28, s15
	v_mad_u64_u32 v[10:11], null, v28, s14, 0
	v_add3_u32 v11, v11, v13, v12
	v_lshlrev_b64 v[10:11], 3, v[10:11]
	v_add_co_u32 v10, vcc_lo, v1, v10
	v_add_co_ci_u32_e64 v11, null, v20, v11, vcc_lo
	global_load_dwordx2 v[10:11], v[10:11], off offset:512
	s_waitcnt vmcnt(0)
	v_cmp_neq_f32_e32 vcc_lo, 0, v10
	v_cmp_neq_f32_e64 s0, 0, v11
	s_or_b32 s0, vcc_lo, s0
	v_cndmask_b32_e64 v10, 0, 1, s0
	v_add_co_u32 v4, vcc_lo, v4, v10
	v_add_co_ci_u32_e64 v5, null, 0, v5, vcc_lo
	v_mov_b32_e32 v17, v9
	v_mov_b32_e32 v16, v8
	;; [unrolled: 1-line block ×8, first 2 shown]
.LBB32_69:
	v_mov_b32_e32 v2, v10
	v_mov_b32_e32 v3, v11
	;; [unrolled: 1-line block ×8, first 2 shown]
.LBB32_70:
	s_or_b32 exec_lo, exec_lo, s4
	v_or_b32_e32 v28, 3, v18
	v_mov_b32_e32 v29, v19
	s_mov_b32 s4, exec_lo
	v_cmpx_gt_i64_e64 s[10:11], v[28:29]
	s_cbranch_execz .LBB32_76
; %bb.71:
	s_andn2_b32 vcc_lo, exec_lo, s1
	s_cbranch_vccnz .LBB32_73
; %bb.72:
	global_load_dwordx2 v[10:11], v[23:24], off offset:24
	s_waitcnt vmcnt(0)
	v_cmp_neq_f32_e32 vcc_lo, 0, v10
	v_cmp_neq_f32_e64 s0, 0, v11
	s_or_b32 s0, vcc_lo, s0
	v_cndmask_b32_e64 v10, 0, 1, s0
	v_add_co_u32 v23, vcc_lo, v4, v10
	v_add_co_ci_u32_e64 v24, null, 0, v5, vcc_lo
	v_mov_b32_e32 v17, v9
	v_mov_b32_e32 v13, v5
	;; [unrolled: 1-line block ×10, first 2 shown]
	s_cbranch_execz .LBB32_74
	s_branch .LBB32_75
.LBB32_73:
                                        ; implicit-def: $vgpr10_vgpr11_vgpr12_vgpr13_vgpr14_vgpr15_vgpr16_vgpr17
.LBB32_74:
	v_mul_lo_u32 v12, v29, s14
	v_mul_lo_u32 v13, v28, s15
	v_mad_u64_u32 v[10:11], null, v28, s14, 0
	v_add3_u32 v11, v11, v13, v12
	v_lshlrev_b64 v[10:11], 3, v[10:11]
	v_add_co_u32 v10, vcc_lo, v1, v10
	v_add_co_ci_u32_e64 v11, null, v20, v11, vcc_lo
	global_load_dwordx2 v[10:11], v[10:11], off offset:512
	s_waitcnt vmcnt(0)
	v_cmp_neq_f32_e32 vcc_lo, 0, v10
	v_cmp_neq_f32_e64 s0, 0, v11
	s_or_b32 s0, vcc_lo, s0
	v_cndmask_b32_e64 v1, 0, 1, s0
	v_add_co_u32 v4, vcc_lo, v4, v1
	v_add_co_ci_u32_e64 v5, null, 0, v5, vcc_lo
	v_mov_b32_e32 v17, v9
	v_mov_b32_e32 v16, v8
	;; [unrolled: 1-line block ×8, first 2 shown]
.LBB32_75:
	v_mov_b32_e32 v2, v10
	v_mov_b32_e32 v3, v11
	;; [unrolled: 1-line block ×8, first 2 shown]
.LBB32_76:
	s_or_b32 exec_lo, exec_lo, s4
.LBB32_77:
	s_or_b32 exec_lo, exec_lo, s3
	v_mov_b32_e32 v23, v21
	s_mov_b32 s3, exec_lo
	v_cmpx_gt_i64_e64 s[8:9], v[22:23]
	s_cbranch_execz .LBB32_101
; %bb.78:
	v_mad_u64_u32 v[10:11], null, v22, s14, 0
	s_mov_b32 s4, exec_lo
	v_mov_b32_e32 v1, v11
	v_mad_u64_u32 v[11:12], null, v22, s15, v[1:2]
	v_lshlrev_b64 v[10:11], 3, v[10:11]
	v_add_co_u32 v22, s0, v34, v10
	v_add_co_ci_u32_e64 v23, null, v35, v11, s0
	v_add_co_u32 v1, s0, s12, v26
	v_add_co_ci_u32_e64 v20, null, s13, v27, s0
	v_cmpx_gt_i64_e64 s[10:11], v[18:19]
	s_cbranch_execz .LBB32_82
; %bb.79:
	v_mov_b32_e32 v10, v22
	v_mov_b32_e32 v11, v23
	s_andn2_b32 vcc_lo, exec_lo, s2
	s_cbranch_vccnz .LBB32_81
; %bb.80:
	v_mul_lo_u32 v12, v19, s14
	v_mul_lo_u32 v13, v18, s15
	v_mad_u64_u32 v[10:11], null, v18, s14, 0
	v_add3_u32 v11, v11, v13, v12
	v_lshlrev_b64 v[10:11], 3, v[10:11]
	v_add_co_u32 v10, vcc_lo, v1, v10
	v_add_co_ci_u32_e64 v11, null, v20, v11, vcc_lo
	v_add_co_u32 v10, vcc_lo, 0x400, v10
	v_add_co_ci_u32_e64 v11, null, 0, v11, vcc_lo
.LBB32_81:
	global_load_dwordx2 v[10:11], v[10:11], off
	s_waitcnt vmcnt(0)
	v_cmp_neq_f32_e32 vcc_lo, 0, v10
	v_cmp_neq_f32_e64 s0, 0, v11
	s_or_b32 s0, vcc_lo, s0
	v_cndmask_b32_e64 v10, 0, 1, s0
	v_add_co_u32 v6, vcc_lo, v6, v10
	v_add_co_ci_u32_e64 v7, null, 0, v7, vcc_lo
.LBB32_82:
	s_or_b32 exec_lo, exec_lo, s4
	v_or_b32_e32 v24, 1, v18
	v_mov_b32_e32 v25, v19
	s_mov_b32 s4, exec_lo
	v_cmpx_gt_i64_e64 s[10:11], v[24:25]
	s_cbranch_execz .LBB32_88
; %bb.83:
	s_andn2_b32 vcc_lo, exec_lo, s1
	s_cbranch_vccnz .LBB32_85
; %bb.84:
	global_load_dwordx2 v[10:11], v[22:23], off offset:8
	s_waitcnt vmcnt(0)
	v_cmp_neq_f32_e32 vcc_lo, 0, v10
	v_cmp_neq_f32_e64 s0, 0, v11
	s_or_b32 s0, vcc_lo, s0
	v_cndmask_b32_e64 v10, 0, 1, s0
	v_add_co_u32 v28, vcc_lo, v6, v10
	v_add_co_ci_u32_e64 v29, null, 0, v7, vcc_lo
	v_mov_b32_e32 v17, v9
	v_mov_b32_e32 v15, v7
	;; [unrolled: 1-line block ×10, first 2 shown]
	s_cbranch_execz .LBB32_86
	s_branch .LBB32_87
.LBB32_85:
                                        ; implicit-def: $vgpr10_vgpr11_vgpr12_vgpr13_vgpr14_vgpr15_vgpr16_vgpr17
.LBB32_86:
	v_mul_lo_u32 v12, v25, s14
	v_mul_lo_u32 v13, v24, s15
	v_mad_u64_u32 v[10:11], null, v24, s14, 0
	v_add3_u32 v11, v11, v13, v12
	v_lshlrev_b64 v[10:11], 3, v[10:11]
	v_add_co_u32 v10, vcc_lo, v1, v10
	v_add_co_ci_u32_e64 v11, null, v20, v11, vcc_lo
	global_load_dwordx2 v[10:11], v[10:11], off offset:1024
	s_waitcnt vmcnt(0)
	v_cmp_neq_f32_e32 vcc_lo, 0, v10
	v_cmp_neq_f32_e64 s0, 0, v11
	s_or_b32 s0, vcc_lo, s0
	v_cndmask_b32_e64 v10, 0, 1, s0
	v_add_co_u32 v6, vcc_lo, v6, v10
	v_add_co_ci_u32_e64 v7, null, 0, v7, vcc_lo
	v_mov_b32_e32 v17, v9
	v_mov_b32_e32 v16, v8
	;; [unrolled: 1-line block ×8, first 2 shown]
.LBB32_87:
	v_mov_b32_e32 v2, v10
	v_mov_b32_e32 v3, v11
	;; [unrolled: 1-line block ×8, first 2 shown]
.LBB32_88:
	s_or_b32 exec_lo, exec_lo, s4
	v_or_b32_e32 v24, 2, v18
	v_mov_b32_e32 v25, v19
	s_mov_b32 s4, exec_lo
	v_cmpx_gt_i64_e64 s[10:11], v[24:25]
	s_cbranch_execz .LBB32_94
; %bb.89:
	s_andn2_b32 vcc_lo, exec_lo, s1
	s_cbranch_vccnz .LBB32_91
; %bb.90:
	global_load_dwordx2 v[10:11], v[22:23], off offset:16
	s_waitcnt vmcnt(0)
	v_cmp_neq_f32_e32 vcc_lo, 0, v10
	v_cmp_neq_f32_e64 s0, 0, v11
	s_or_b32 s0, vcc_lo, s0
	v_cndmask_b32_e64 v10, 0, 1, s0
	v_add_co_u32 v28, vcc_lo, v6, v10
	v_add_co_ci_u32_e64 v29, null, 0, v7, vcc_lo
	v_mov_b32_e32 v17, v9
	v_mov_b32_e32 v15, v7
	;; [unrolled: 1-line block ×10, first 2 shown]
	s_cbranch_execz .LBB32_92
	s_branch .LBB32_93
.LBB32_91:
                                        ; implicit-def: $vgpr10_vgpr11_vgpr12_vgpr13_vgpr14_vgpr15_vgpr16_vgpr17
.LBB32_92:
	v_mul_lo_u32 v12, v25, s14
	v_mul_lo_u32 v13, v24, s15
	v_mad_u64_u32 v[10:11], null, v24, s14, 0
	v_add3_u32 v11, v11, v13, v12
	v_lshlrev_b64 v[10:11], 3, v[10:11]
	v_add_co_u32 v10, vcc_lo, v1, v10
	v_add_co_ci_u32_e64 v11, null, v20, v11, vcc_lo
	global_load_dwordx2 v[10:11], v[10:11], off offset:1024
	s_waitcnt vmcnt(0)
	v_cmp_neq_f32_e32 vcc_lo, 0, v10
	v_cmp_neq_f32_e64 s0, 0, v11
	s_or_b32 s0, vcc_lo, s0
	v_cndmask_b32_e64 v10, 0, 1, s0
	v_add_co_u32 v6, vcc_lo, v6, v10
	v_add_co_ci_u32_e64 v7, null, 0, v7, vcc_lo
	v_mov_b32_e32 v17, v9
	v_mov_b32_e32 v16, v8
	;; [unrolled: 1-line block ×8, first 2 shown]
.LBB32_93:
	v_mov_b32_e32 v2, v10
	v_mov_b32_e32 v3, v11
	;; [unrolled: 1-line block ×8, first 2 shown]
.LBB32_94:
	s_or_b32 exec_lo, exec_lo, s4
	v_or_b32_e32 v24, 3, v18
	v_mov_b32_e32 v25, v19
	s_mov_b32 s4, exec_lo
	v_cmpx_gt_i64_e64 s[10:11], v[24:25]
	s_cbranch_execz .LBB32_100
; %bb.95:
	s_andn2_b32 vcc_lo, exec_lo, s1
	s_cbranch_vccnz .LBB32_97
; %bb.96:
	global_load_dwordx2 v[10:11], v[22:23], off offset:24
	s_waitcnt vmcnt(0)
	v_cmp_neq_f32_e32 vcc_lo, 0, v10
	v_cmp_neq_f32_e64 s0, 0, v11
	s_or_b32 s0, vcc_lo, s0
	v_cndmask_b32_e64 v10, 0, 1, s0
	v_add_co_u32 v22, vcc_lo, v6, v10
	v_add_co_ci_u32_e64 v23, null, 0, v7, vcc_lo
	v_mov_b32_e32 v17, v9
	v_mov_b32_e32 v15, v7
	;; [unrolled: 1-line block ×10, first 2 shown]
	s_cbranch_execz .LBB32_98
	s_branch .LBB32_99
.LBB32_97:
                                        ; implicit-def: $vgpr10_vgpr11_vgpr12_vgpr13_vgpr14_vgpr15_vgpr16_vgpr17
.LBB32_98:
	v_mul_lo_u32 v12, v25, s14
	v_mul_lo_u32 v13, v24, s15
	v_mad_u64_u32 v[10:11], null, v24, s14, 0
	v_add3_u32 v11, v11, v13, v12
	v_lshlrev_b64 v[10:11], 3, v[10:11]
	v_add_co_u32 v10, vcc_lo, v1, v10
	v_add_co_ci_u32_e64 v11, null, v20, v11, vcc_lo
	global_load_dwordx2 v[10:11], v[10:11], off offset:1024
	s_waitcnt vmcnt(0)
	v_cmp_neq_f32_e32 vcc_lo, 0, v10
	v_cmp_neq_f32_e64 s0, 0, v11
	s_or_b32 s0, vcc_lo, s0
	v_cndmask_b32_e64 v1, 0, 1, s0
	v_add_co_u32 v6, vcc_lo, v6, v1
	v_add_co_ci_u32_e64 v7, null, 0, v7, vcc_lo
	v_mov_b32_e32 v17, v9
	v_mov_b32_e32 v16, v8
	;; [unrolled: 1-line block ×8, first 2 shown]
.LBB32_99:
	v_mov_b32_e32 v2, v10
	v_mov_b32_e32 v3, v11
	;; [unrolled: 1-line block ×8, first 2 shown]
.LBB32_100:
	s_or_b32 exec_lo, exec_lo, s4
.LBB32_101:
	s_or_b32 exec_lo, exec_lo, s3
	v_mov_b32_e32 v1, v21
	s_mov_b32 s3, exec_lo
	v_cmpx_gt_i64_e64 s[8:9], v[0:1]
	s_cbranch_execz .LBB32_125
; %bb.102:
	v_mad_u64_u32 v[10:11], null, v0, s14, 0
	s_mov_b32 s4, exec_lo
	v_mov_b32_e32 v1, v11
	v_mad_u64_u32 v[0:1], null, v0, s15, v[1:2]
	v_mov_b32_e32 v11, v0
	v_lshlrev_b64 v[0:1], 3, v[10:11]
	v_add_co_u32 v0, s0, v34, v0
	v_add_co_ci_u32_e64 v1, null, v35, v1, s0
	v_add_co_u32 v22, s0, s12, v26
	v_add_co_ci_u32_e64 v23, null, s13, v27, s0
	v_cmpx_gt_i64_e64 s[10:11], v[18:19]
	s_cbranch_execz .LBB32_106
; %bb.103:
	v_mov_b32_e32 v11, v1
	v_mov_b32_e32 v10, v0
	s_andn2_b32 vcc_lo, exec_lo, s2
	s_cbranch_vccnz .LBB32_105
; %bb.104:
	v_mul_lo_u32 v12, v19, s14
	v_mul_lo_u32 v13, v18, s15
	v_mad_u64_u32 v[10:11], null, v18, s14, 0
	v_add3_u32 v11, v11, v13, v12
	v_lshlrev_b64 v[10:11], 3, v[10:11]
	v_add_co_u32 v10, vcc_lo, v22, v10
	v_add_co_ci_u32_e64 v11, null, v23, v11, vcc_lo
	v_add_co_u32 v10, vcc_lo, 0x600, v10
	v_add_co_ci_u32_e64 v11, null, 0, v11, vcc_lo
.LBB32_105:
	global_load_dwordx2 v[10:11], v[10:11], off
	s_waitcnt vmcnt(0)
	v_cmp_neq_f32_e32 vcc_lo, 0, v10
	v_cmp_neq_f32_e64 s0, 0, v11
	s_or_b32 s0, vcc_lo, s0
	v_cndmask_b32_e64 v10, 0, 1, s0
	v_add_co_u32 v8, vcc_lo, v8, v10
	v_add_co_ci_u32_e64 v9, null, 0, v9, vcc_lo
.LBB32_106:
	s_or_b32 exec_lo, exec_lo, s4
	v_or_b32_e32 v20, 1, v18
	v_mov_b32_e32 v21, v19
	v_cndmask_b32_e64 v24, 0, 1, s1
	s_mov_b32 s2, exec_lo
	v_cmpx_gt_i64_e64 s[10:11], v[20:21]
	s_cbranch_execz .LBB32_112
; %bb.107:
	s_andn2_b32 vcc_lo, exec_lo, s1
	s_cbranch_vccnz .LBB32_109
; %bb.108:
	global_load_dwordx2 v[10:11], v[0:1], off offset:8
	s_waitcnt vmcnt(0)
	v_cmp_neq_f32_e32 vcc_lo, 0, v10
	v_cmp_neq_f32_e64 s0, 0, v11
	s_or_b32 s0, vcc_lo, s0
	v_cndmask_b32_e64 v10, 0, 1, s0
	v_add_co_u32 v25, vcc_lo, v8, v10
	v_add_co_ci_u32_e64 v26, null, 0, v9, vcc_lo
	v_mov_b32_e32 v17, v9
	v_mov_b32_e32 v16, v8
	;; [unrolled: 1-line block ×10, first 2 shown]
	s_cbranch_execz .LBB32_110
	s_branch .LBB32_111
.LBB32_109:
                                        ; implicit-def: $vgpr10_vgpr11_vgpr12_vgpr13_vgpr14_vgpr15_vgpr16_vgpr17
.LBB32_110:
	v_mul_lo_u32 v12, v21, s14
	v_mul_lo_u32 v13, v20, s15
	v_mad_u64_u32 v[10:11], null, v20, s14, 0
	v_add3_u32 v11, v11, v13, v12
	v_lshlrev_b64 v[10:11], 3, v[10:11]
	v_add_co_u32 v10, vcc_lo, v22, v10
	v_add_co_ci_u32_e64 v11, null, v23, v11, vcc_lo
	global_load_dwordx2 v[10:11], v[10:11], off offset:1536
	s_waitcnt vmcnt(0)
	v_cmp_neq_f32_e32 vcc_lo, 0, v10
	v_cmp_neq_f32_e64 s0, 0, v11
	s_or_b32 s0, vcc_lo, s0
	v_cndmask_b32_e64 v10, 0, 1, s0
	v_add_co_u32 v8, vcc_lo, v8, v10
	v_add_co_ci_u32_e64 v9, null, 0, v9, vcc_lo
	v_mov_b32_e32 v17, v9
	v_mov_b32_e32 v16, v8
	v_mov_b32_e32 v15, v7
	v_mov_b32_e32 v14, v6
	v_mov_b32_e32 v13, v5
	v_mov_b32_e32 v12, v4
	v_mov_b32_e32 v11, v3
	v_mov_b32_e32 v10, v2
.LBB32_111:
	v_mov_b32_e32 v2, v10
	v_mov_b32_e32 v3, v11
	;; [unrolled: 1-line block ×8, first 2 shown]
.LBB32_112:
	s_or_b32 exec_lo, exec_lo, s2
	v_or_b32_e32 v20, 2, v18
	v_mov_b32_e32 v21, v19
	s_mov_b32 s1, exec_lo
	v_cmpx_gt_i64_e64 s[10:11], v[20:21]
	s_cbranch_execz .LBB32_118
; %bb.113:
	v_cmp_ne_u32_e32 vcc_lo, 1, v24
	s_cbranch_vccnz .LBB32_115
; %bb.114:
	global_load_dwordx2 v[10:11], v[0:1], off offset:16
	s_waitcnt vmcnt(0)
	v_cmp_neq_f32_e32 vcc_lo, 0, v10
	v_cmp_neq_f32_e64 s0, 0, v11
	s_or_b32 s0, vcc_lo, s0
	v_cndmask_b32_e64 v10, 0, 1, s0
	v_add_co_u32 v25, vcc_lo, v8, v10
	v_add_co_ci_u32_e64 v26, null, 0, v9, vcc_lo
	v_mov_b32_e32 v17, v9
	v_mov_b32_e32 v16, v8
	;; [unrolled: 1-line block ×10, first 2 shown]
	s_cbranch_execz .LBB32_116
	s_branch .LBB32_117
.LBB32_115:
                                        ; implicit-def: $vgpr10_vgpr11_vgpr12_vgpr13_vgpr14_vgpr15_vgpr16_vgpr17
.LBB32_116:
	v_mul_lo_u32 v12, v21, s14
	v_mul_lo_u32 v13, v20, s15
	v_mad_u64_u32 v[10:11], null, v20, s14, 0
	v_add3_u32 v11, v11, v13, v12
	v_lshlrev_b64 v[10:11], 3, v[10:11]
	v_add_co_u32 v10, vcc_lo, v22, v10
	v_add_co_ci_u32_e64 v11, null, v23, v11, vcc_lo
	global_load_dwordx2 v[10:11], v[10:11], off offset:1536
	s_waitcnt vmcnt(0)
	v_cmp_neq_f32_e32 vcc_lo, 0, v10
	v_cmp_neq_f32_e64 s0, 0, v11
	s_or_b32 s0, vcc_lo, s0
	v_cndmask_b32_e64 v10, 0, 1, s0
	v_add_co_u32 v8, vcc_lo, v8, v10
	v_add_co_ci_u32_e64 v9, null, 0, v9, vcc_lo
	v_mov_b32_e32 v17, v9
	v_mov_b32_e32 v16, v8
	;; [unrolled: 1-line block ×8, first 2 shown]
.LBB32_117:
	v_mov_b32_e32 v2, v10
	v_mov_b32_e32 v3, v11
	;; [unrolled: 1-line block ×8, first 2 shown]
.LBB32_118:
	s_or_b32 exec_lo, exec_lo, s1
	v_or_b32_e32 v18, 3, v18
	s_mov_b32 s1, exec_lo
	v_cmpx_gt_i64_e64 s[10:11], v[18:19]
	s_cbranch_execz .LBB32_124
; %bb.119:
	v_cmp_ne_u32_e32 vcc_lo, 1, v24
	s_cbranch_vccnz .LBB32_121
; %bb.120:
	global_load_dwordx2 v[0:1], v[0:1], off offset:24
	v_mov_b32_e32 v17, v9
	v_mov_b32_e32 v16, v8
	;; [unrolled: 1-line block ×8, first 2 shown]
	s_waitcnt vmcnt(0)
	v_cmp_neq_f32_e32 vcc_lo, 0, v0
	v_cmp_neq_f32_e64 s0, 0, v1
	s_or_b32 s0, vcc_lo, s0
	v_cndmask_b32_e64 v0, 0, 1, s0
	v_add_co_u32 v0, vcc_lo, v8, v0
	v_add_co_ci_u32_e64 v1, null, 0, v9, vcc_lo
	v_mov_b32_e32 v16, v0
	v_mov_b32_e32 v17, v1
	s_cbranch_execz .LBB32_122
	s_branch .LBB32_123
.LBB32_121:
                                        ; implicit-def: $vgpr10_vgpr11_vgpr12_vgpr13_vgpr14_vgpr15_vgpr16_vgpr17
.LBB32_122:
	v_mul_lo_u32 v10, v19, s14
	v_mul_lo_u32 v11, v18, s15
	v_mad_u64_u32 v[0:1], null, v18, s14, 0
	v_add3_u32 v1, v1, v11, v10
	v_lshlrev_b64 v[0:1], 3, v[0:1]
	v_add_co_u32 v0, vcc_lo, v22, v0
	v_add_co_ci_u32_e64 v1, null, v23, v1, vcc_lo
	global_load_dwordx2 v[0:1], v[0:1], off offset:1536
	s_waitcnt vmcnt(0)
	v_cmp_neq_f32_e32 vcc_lo, 0, v0
	v_cmp_neq_f32_e64 s0, 0, v1
	s_or_b32 s0, vcc_lo, s0
	v_cndmask_b32_e64 v0, 0, 1, s0
	v_add_co_u32 v8, vcc_lo, v8, v0
	v_add_co_ci_u32_e64 v9, null, 0, v9, vcc_lo
	v_mov_b32_e32 v17, v9
	v_mov_b32_e32 v16, v8
	;; [unrolled: 1-line block ×8, first 2 shown]
.LBB32_123:
	v_mov_b32_e32 v2, v10
	v_mov_b32_e32 v3, v11
	;; [unrolled: 1-line block ×8, first 2 shown]
.LBB32_124:
	s_or_b32 exec_lo, exec_lo, s1
.LBB32_125:
	s_or_b32 exec_lo, exec_lo, s3
.LBB32_126:
	v_lshlrev_b32_e32 v0, 5, v32
	v_lshlrev_b32_e32 v1, 3, v33
	s_mov_b32 s0, exec_lo
	v_and_or_b32 v0, 0xfffff800, v0, v1
	ds_write2st64_b64 v0, v[2:3], v[4:5] offset1:1
	ds_write2st64_b64 v0, v[6:7], v[8:9] offset0:2 offset1:3
	s_waitcnt lgkmcnt(0)
	s_barrier
	buffer_gl0_inv
	v_cmpx_gt_u32_e32 0x100, v32
	s_cbranch_execz .LBB32_129
; %bb.127:
	v_lshlrev_b32_e32 v12, 3, v32
	ds_read2st64_b64 v[0:3], v12 offset1:4
	ds_read2st64_b64 v[4:7], v12 offset0:8 offset1:12
	ds_read2st64_b64 v[8:11], v12 offset0:16 offset1:20
	s_waitcnt lgkmcnt(2)
	v_add_co_u32 v13, vcc_lo, v0, v2
	v_add_co_ci_u32_e64 v14, null, v1, v3, vcc_lo
	ds_read2st64_b64 v[0:3], v12 offset0:24 offset1:28
	s_waitcnt lgkmcnt(2)
	v_add_co_u32 v4, vcc_lo, v13, v4
	v_add_co_ci_u32_e64 v5, null, v14, v5, vcc_lo
	v_add_co_u32 v13, vcc_lo, v4, v6
	v_add_co_ci_u32_e64 v14, null, v5, v7, vcc_lo
	ds_read2st64_b64 v[4:7], v12 offset0:32 offset1:36
	s_waitcnt lgkmcnt(2)
	v_add_co_u32 v8, vcc_lo, v13, v8
	v_add_co_ci_u32_e64 v9, null, v14, v9, vcc_lo
	;; [unrolled: 6-line block ×5, first 2 shown]
	v_add_co_u32 v8, vcc_lo, v8, v10
	v_add_co_ci_u32_e64 v9, null, v9, v11, vcc_lo
	s_waitcnt lgkmcnt(1)
	v_add_co_u32 v0, vcc_lo, v8, v0
	v_add_co_ci_u32_e64 v1, null, v9, v1, vcc_lo
	v_add_co_u32 v0, vcc_lo, v0, v2
	v_add_co_ci_u32_e64 v1, null, v1, v3, vcc_lo
	v_add_co_u32 v2, s0, v32, s22
	s_waitcnt lgkmcnt(0)
	v_add_co_u32 v0, vcc_lo, v0, v4
	v_add_co_ci_u32_e64 v1, null, v1, v5, vcc_lo
	v_add_co_ci_u32_e64 v3, null, 0, 0, s0
	v_add_co_u32 v0, vcc_lo, v0, v6
	v_add_co_ci_u32_e64 v1, null, v1, v7, vcc_lo
	v_cmp_gt_i64_e32 vcc_lo, s[8:9], v[2:3]
	ds_write_b64 v12, v[0:1]
	s_and_b32 exec_lo, exec_lo, vcc_lo
	s_cbranch_execz .LBB32_129
; %bb.128:
	v_lshlrev_b64 v[2:3], 3, v[2:3]
	v_add_co_u32 v2, vcc_lo, s16, v2
	v_add_co_ci_u32_e64 v3, null, s17, v3, vcc_lo
	global_store_dwordx2 v[2:3], v[0:1], off
.LBB32_129:
	s_endpgm
	.section	.rodata,"a",@progbits
	.p2align	6, 0x0
	.amdhsa_kernel _ZN9rocsparseL14nnz_kernel_rowILi64ELi16Ell21rocsparse_complex_numIfEEEv16rocsparse_order_T2_S4_PKT3_lPT1_
		.amdhsa_group_segment_fixed_size 32768
		.amdhsa_private_segment_fixed_size 0
		.amdhsa_kernarg_size 304
		.amdhsa_user_sgpr_count 6
		.amdhsa_user_sgpr_private_segment_buffer 1
		.amdhsa_user_sgpr_dispatch_ptr 0
		.amdhsa_user_sgpr_queue_ptr 0
		.amdhsa_user_sgpr_kernarg_segment_ptr 1
		.amdhsa_user_sgpr_dispatch_id 0
		.amdhsa_user_sgpr_flat_scratch_init 0
		.amdhsa_user_sgpr_private_segment_size 0
		.amdhsa_wavefront_size32 1
		.amdhsa_uses_dynamic_stack 0
		.amdhsa_system_sgpr_private_segment_wavefront_offset 0
		.amdhsa_system_sgpr_workgroup_id_x 1
		.amdhsa_system_sgpr_workgroup_id_y 0
		.amdhsa_system_sgpr_workgroup_id_z 0
		.amdhsa_system_sgpr_workgroup_info 0
		.amdhsa_system_vgpr_workitem_id 1
		.amdhsa_next_free_vgpr 42
		.amdhsa_next_free_sgpr 28
		.amdhsa_reserve_vcc 1
		.amdhsa_reserve_flat_scratch 0
		.amdhsa_float_round_mode_32 0
		.amdhsa_float_round_mode_16_64 0
		.amdhsa_float_denorm_mode_32 3
		.amdhsa_float_denorm_mode_16_64 3
		.amdhsa_dx10_clamp 1
		.amdhsa_ieee_mode 1
		.amdhsa_fp16_overflow 0
		.amdhsa_workgroup_processor_mode 1
		.amdhsa_memory_ordered 1
		.amdhsa_forward_progress 1
		.amdhsa_shared_vgpr_count 0
		.amdhsa_exception_fp_ieee_invalid_op 0
		.amdhsa_exception_fp_denorm_src 0
		.amdhsa_exception_fp_ieee_div_zero 0
		.amdhsa_exception_fp_ieee_overflow 0
		.amdhsa_exception_fp_ieee_underflow 0
		.amdhsa_exception_fp_ieee_inexact 0
		.amdhsa_exception_int_div_zero 0
	.end_amdhsa_kernel
	.section	.text._ZN9rocsparseL14nnz_kernel_rowILi64ELi16Ell21rocsparse_complex_numIfEEEv16rocsparse_order_T2_S4_PKT3_lPT1_,"axG",@progbits,_ZN9rocsparseL14nnz_kernel_rowILi64ELi16Ell21rocsparse_complex_numIfEEEv16rocsparse_order_T2_S4_PKT3_lPT1_,comdat
.Lfunc_end32:
	.size	_ZN9rocsparseL14nnz_kernel_rowILi64ELi16Ell21rocsparse_complex_numIfEEEv16rocsparse_order_T2_S4_PKT3_lPT1_, .Lfunc_end32-_ZN9rocsparseL14nnz_kernel_rowILi64ELi16Ell21rocsparse_complex_numIfEEEv16rocsparse_order_T2_S4_PKT3_lPT1_
                                        ; -- End function
	.set _ZN9rocsparseL14nnz_kernel_rowILi64ELi16Ell21rocsparse_complex_numIfEEEv16rocsparse_order_T2_S4_PKT3_lPT1_.num_vgpr, 42
	.set _ZN9rocsparseL14nnz_kernel_rowILi64ELi16Ell21rocsparse_complex_numIfEEEv16rocsparse_order_T2_S4_PKT3_lPT1_.num_agpr, 0
	.set _ZN9rocsparseL14nnz_kernel_rowILi64ELi16Ell21rocsparse_complex_numIfEEEv16rocsparse_order_T2_S4_PKT3_lPT1_.numbered_sgpr, 28
	.set _ZN9rocsparseL14nnz_kernel_rowILi64ELi16Ell21rocsparse_complex_numIfEEEv16rocsparse_order_T2_S4_PKT3_lPT1_.num_named_barrier, 0
	.set _ZN9rocsparseL14nnz_kernel_rowILi64ELi16Ell21rocsparse_complex_numIfEEEv16rocsparse_order_T2_S4_PKT3_lPT1_.private_seg_size, 0
	.set _ZN9rocsparseL14nnz_kernel_rowILi64ELi16Ell21rocsparse_complex_numIfEEEv16rocsparse_order_T2_S4_PKT3_lPT1_.uses_vcc, 1
	.set _ZN9rocsparseL14nnz_kernel_rowILi64ELi16Ell21rocsparse_complex_numIfEEEv16rocsparse_order_T2_S4_PKT3_lPT1_.uses_flat_scratch, 0
	.set _ZN9rocsparseL14nnz_kernel_rowILi64ELi16Ell21rocsparse_complex_numIfEEEv16rocsparse_order_T2_S4_PKT3_lPT1_.has_dyn_sized_stack, 0
	.set _ZN9rocsparseL14nnz_kernel_rowILi64ELi16Ell21rocsparse_complex_numIfEEEv16rocsparse_order_T2_S4_PKT3_lPT1_.has_recursion, 0
	.set _ZN9rocsparseL14nnz_kernel_rowILi64ELi16Ell21rocsparse_complex_numIfEEEv16rocsparse_order_T2_S4_PKT3_lPT1_.has_indirect_call, 0
	.section	.AMDGPU.csdata,"",@progbits
; Kernel info:
; codeLenInByte = 8584
; TotalNumSgprs: 30
; NumVgprs: 42
; ScratchSize: 0
; MemoryBound: 0
; FloatMode: 240
; IeeeMode: 1
; LDSByteSize: 32768 bytes/workgroup (compile time only)
; SGPRBlocks: 0
; VGPRBlocks: 5
; NumSGPRsForWavesPerEU: 30
; NumVGPRsForWavesPerEU: 42
; Occupancy: 16
; WaveLimiterHint : 0
; COMPUTE_PGM_RSRC2:SCRATCH_EN: 0
; COMPUTE_PGM_RSRC2:USER_SGPR: 6
; COMPUTE_PGM_RSRC2:TRAP_HANDLER: 0
; COMPUTE_PGM_RSRC2:TGID_X_EN: 1
; COMPUTE_PGM_RSRC2:TGID_Y_EN: 0
; COMPUTE_PGM_RSRC2:TGID_Z_EN: 0
; COMPUTE_PGM_RSRC2:TIDIG_COMP_CNT: 1
	.section	.text._ZN9rocsparseL14nnz_kernel_colILi256Ell21rocsparse_complex_numIfEEEv16rocsparse_order_T1_S4_PKT2_lPT0_,"axG",@progbits,_ZN9rocsparseL14nnz_kernel_colILi256Ell21rocsparse_complex_numIfEEEv16rocsparse_order_T1_S4_PKT2_lPT0_,comdat
	.globl	_ZN9rocsparseL14nnz_kernel_colILi256Ell21rocsparse_complex_numIfEEEv16rocsparse_order_T1_S4_PKT2_lPT0_ ; -- Begin function _ZN9rocsparseL14nnz_kernel_colILi256Ell21rocsparse_complex_numIfEEEv16rocsparse_order_T1_S4_PKT2_lPT0_
	.p2align	8
	.type	_ZN9rocsparseL14nnz_kernel_colILi256Ell21rocsparse_complex_numIfEEEv16rocsparse_order_T1_S4_PKT2_lPT0_,@function
_ZN9rocsparseL14nnz_kernel_colILi256Ell21rocsparse_complex_numIfEEEv16rocsparse_order_T1_S4_PKT2_lPT0_: ; @_ZN9rocsparseL14nnz_kernel_colILi256Ell21rocsparse_complex_numIfEEEv16rocsparse_order_T1_S4_PKT2_lPT0_
; %bb.0:
	s_clause 0x2
	s_load_dwordx2 s[2:3], s[4:5], 0x8
	s_load_dword s1, s[4:5], 0x0
	s_load_dwordx4 s[8:11], s[4:5], 0x18
	v_mov_b32_e32 v1, 0
	s_waitcnt lgkmcnt(0)
	s_ashr_i32 s0, s3, 31
	s_lshr_b32 s0, s0, 24
	s_add_u32 s7, s2, s0
	v_cmp_gt_i64_e64 s0, 0x100, s[2:3]
	s_addc_u32 s13, s3, 0
	s_and_b32 s12, s7, 0xffffff00
	s_cmp_eq_u32 s1, 1
	s_mov_b32 s7, 0
	s_cbranch_scc1 .LBB33_6
; %bb.1:
	v_mov_b32_e32 v2, 0
	v_mov_b32_e32 v3, 0
	s_and_b32 vcc_lo, exec_lo, s0
	s_cbranch_vccnz .LBB33_7
; %bb.2:
	v_mad_u64_u32 v[2:3], null, s10, v0, 0
	s_lshl_b64 s[0:1], s[6:7], 3
	s_mov_b64 s[16:17], 0
	s_add_u32 s0, s8, s0
	s_addc_u32 s1, s9, s1
	s_lshl_b64 s[14:15], s[10:11], 11
	v_mad_u64_u32 v[3:4], null, s11, v0, v[3:4]
	v_lshlrev_b64 v[2:3], 3, v[2:3]
	v_add_co_u32 v4, vcc_lo, s0, v2
	v_add_co_ci_u32_e64 v5, null, s1, v3, vcc_lo
	v_mov_b32_e32 v2, 0
	v_add_co_u32 v4, vcc_lo, v4, 4
	v_mov_b32_e32 v3, 0
	v_add_co_ci_u32_e64 v5, null, 0, v5, vcc_lo
	s_inst_prefetch 0x1
	s_branch .LBB33_4
	.p2align	6
.LBB33_3:                               ;   in Loop: Header=BB33_4 Depth=1
	s_or_b32 exec_lo, exec_lo, s1
	s_add_u32 s16, s16, 0x100
	s_addc_u32 s17, s17, 0
	v_add_co_u32 v4, vcc_lo, v4, s14
	v_cmp_ge_i64_e64 s0, s[16:17], s[12:13]
	v_add_co_ci_u32_e64 v5, null, s15, v5, vcc_lo
	s_and_b32 vcc_lo, exec_lo, s0
	s_cbranch_vccnz .LBB33_7
.LBB33_4:                               ; =>This Inner Loop Header: Depth=1
	v_add_co_u32 v6, s0, v0, s16
	v_add_co_ci_u32_e64 v7, null, 0, s17, s0
	s_mov_b32 s1, exec_lo
	v_cmpx_gt_i64_e64 s[2:3], v[6:7]
	s_cbranch_execz .LBB33_3
; %bb.5:                                ;   in Loop: Header=BB33_4 Depth=1
	global_load_dwordx2 v[6:7], v[4:5], off offset:-4
	s_waitcnt vmcnt(0)
	v_cmp_neq_f32_e32 vcc_lo, 0, v6
	v_cmp_neq_f32_e64 s0, 0, v7
	s_or_b32 s0, vcc_lo, s0
	v_cndmask_b32_e64 v6, 0, 1, s0
	v_add_co_u32 v2, vcc_lo, v2, v6
	v_add_co_ci_u32_e64 v3, null, 0, v3, vcc_lo
	s_branch .LBB33_3
.LBB33_6:
	s_mov_b32 s16, s7
                                        ; implicit-def: $vgpr2_vgpr3
                                        ; implicit-def: $vgpr6_vgpr7
	s_cbranch_execnz .LBB33_10
	s_branch .LBB33_16
.LBB33_7:
	s_inst_prefetch 0x2
	v_add_co_u32 v4, s0, s12, v0
	v_add_co_ci_u32_e64 v5, null, s13, 0, s0
	s_mov_b32 s0, 0
	s_mov_b32 s16, 0
	s_mov_b32 s1, exec_lo
                                        ; implicit-def: $vgpr6_vgpr7
	v_cmpx_gt_i64_e64 s[2:3], v[4:5]
	s_xor_b32 s1, exec_lo, s1
	s_cbranch_execz .LBB33_9
; %bb.8:
	v_mul_lo_u32 v6, v5, s10
	v_mul_lo_u32 v7, v4, s11
	v_mad_u64_u32 v[4:5], null, v4, s10, 0
	s_lshl_b64 s[14:15], s[6:7], 3
	s_mov_b32 s16, exec_lo
	v_add3_u32 v5, v5, v7, v6
	v_lshlrev_b64 v[4:5], 3, v[4:5]
	v_add_co_u32 v4, vcc_lo, s8, v4
	v_add_co_ci_u32_e64 v5, null, s9, v5, vcc_lo
	v_add_co_u32 v6, vcc_lo, v4, s14
	v_add_co_ci_u32_e64 v7, null, s15, v5, vcc_lo
.LBB33_9:
	s_or_b32 exec_lo, exec_lo, s1
	s_and_b32 vcc_lo, exec_lo, s0
	s_cbranch_vccz .LBB33_16
.LBB33_10:
	v_cmp_gt_i64_e32 vcc_lo, s[2:3], v[0:1]
	v_mov_b32_e32 v5, 0
	v_cmp_gt_i64_e64 s1, 0x100, s[2:3]
	v_mov_b32_e32 v2, 0
	v_mov_b32_e32 v3, 0
	s_mul_i32 s0, s11, s6
	v_cndmask_b32_e32 v4, 0, v0, vcc_lo
	s_mul_hi_u32 s11, s10, s6
	s_and_b32 vcc_lo, exec_lo, s1
	s_add_i32 s11, s11, s0
	s_mul_i32 s10, s10, s6
	v_lshlrev_b64 v[4:5], 3, v[4:5]
	s_cbranch_vccnz .LBB33_13
; %bb.11:
	s_lshl_b64 s[0:1], s[10:11], 3
	v_mov_b32_e32 v2, 0
	s_add_u32 s0, s8, s0
	s_addc_u32 s1, s9, s1
	v_add_co_u32 v1, vcc_lo, s0, v4
	v_add_co_ci_u32_e64 v7, null, s1, v5, vcc_lo
	v_mov_b32_e32 v3, 0
	v_add_co_u32 v6, vcc_lo, v1, 4
	v_add_co_ci_u32_e64 v7, null, 0, v7, vcc_lo
	s_mov_b64 s[14:15], 0
	.p2align	6
.LBB33_12:                              ; =>This Inner Loop Header: Depth=1
	global_load_dwordx2 v[8:9], v[6:7], off offset:-4
	v_add_co_u32 v6, vcc_lo, 0x800, v6
	v_add_co_ci_u32_e64 v7, null, 0, v7, vcc_lo
	s_waitcnt vmcnt(0)
	v_cmp_neq_f32_e64 s0, 0, v8
	v_cmp_neq_f32_e64 s1, 0, v9
	s_or_b32 s0, s0, s1
	s_add_u32 s14, s14, 0x100
	v_cndmask_b32_e64 v1, 0, 1, s0
	s_addc_u32 s15, s15, 0
	v_cmp_ge_i64_e64 s1, s[14:15], s[12:13]
	v_add_co_u32 v2, vcc_lo, v2, v1
	v_add_co_ci_u32_e64 v3, null, 0, v3, vcc_lo
	s_and_b32 vcc_lo, exec_lo, s1
	s_cbranch_vccz .LBB33_12
.LBB33_13:
	v_add_co_u32 v6, s0, s12, v0
	v_add_co_ci_u32_e64 v7, null, s13, 0, s0
	v_cmp_gt_i64_e32 vcc_lo, s[2:3], v[6:7]
                                        ; implicit-def: $vgpr6_vgpr7
	s_and_saveexec_b32 s0, vcc_lo
; %bb.14:
	s_lshl_b64 s[10:11], s[10:11], 3
	s_add_u32 s1, s8, s10
	s_addc_u32 s8, s9, s11
	v_add_co_u32 v1, vcc_lo, s1, v4
	v_add_co_ci_u32_e64 v4, null, s8, v5, vcc_lo
	s_lshl_b64 s[8:9], s[12:13], 3
	s_or_b32 s16, s16, exec_lo
	v_add_co_u32 v6, vcc_lo, v1, s8
	v_add_co_ci_u32_e64 v7, null, s9, v4, vcc_lo
; %bb.15:
	s_or_b32 exec_lo, exec_lo, s0
.LBB33_16:
	s_and_saveexec_b32 s1, s16
	s_cbranch_execz .LBB33_18
; %bb.17:
	global_load_dwordx2 v[4:5], v[6:7], off
	s_waitcnt vmcnt(0)
	v_cmp_neq_f32_e32 vcc_lo, 0, v4
	v_cmp_neq_f32_e64 s0, 0, v5
	s_or_b32 s0, vcc_lo, s0
	v_cndmask_b32_e64 v1, 0, 1, s0
	v_add_co_u32 v2, vcc_lo, v2, v1
	v_add_co_ci_u32_e64 v3, null, 0, v3, vcc_lo
.LBB33_18:
	s_or_b32 exec_lo, exec_lo, s1
	v_cmp_gt_i64_e64 s0, 0x100, s[2:3]
	v_lshlrev_b32_e32 v4, 3, v0
	s_mov_b32 s1, -1
	ds_write_b64 v4, v[2:3]
	s_and_b32 vcc_lo, exec_lo, s0
	v_cmp_eq_u32_e64 s0, 0, v0
	s_waitcnt lgkmcnt(0)
	s_cbranch_vccz .LBB33_28
; %bb.19:
	v_cmp_gt_i64_e64 s1, s[2:3], 1
	s_mov_b64 s[8:9], 1
	s_barrier
	buffer_gl0_inv
	s_and_b32 s0, s0, s1
	s_and_saveexec_b32 s9, s0
	s_cbranch_execz .LBB33_27
; %bb.20:
	v_mov_b32_e32 v1, 0
	s_add_u32 s10, s2, -1
	s_addc_u32 s1, s3, -1
	s_add_u32 s2, s2, -2
	s_addc_u32 s3, s3, -1
	ds_read_b64 v[1:2], v1
	v_cmp_lt_u64_e64 s0, s[2:3], 7
	s_and_b32 vcc_lo, exec_lo, s0
	s_cbranch_vccnz .LBB33_23
; %bb.21:
	s_and_b32 s0, s10, -8
	s_mov_b64 s[2:3], 0
	s_mov_b32 s11, 8
	s_inst_prefetch 0x1
	.p2align	6
.LBB33_22:                              ; =>This Inner Loop Header: Depth=1
	v_mov_b32_e32 v3, s11
	s_add_u32 s12, s2, 8
	s_addc_u32 s13, s3, 0
	s_add_i32 s11, s11, 64
	s_add_u32 s8, s2, 9
	ds_read2_b64 v[5:8], v3 offset1:1
	ds_read2_b64 v[9:12], v3 offset0:2 offset1:3
	ds_read2_b64 v[13:16], v3 offset0:4 offset1:5
	s_cmp_lg_u64 s[0:1], s[12:13]
	s_mov_b64 s[2:3], s[12:13]
	s_waitcnt lgkmcnt(2)
	v_add_co_u32 v1, vcc_lo, v1, v5
	v_add_co_ci_u32_e64 v2, null, v2, v6, vcc_lo
	v_add_co_u32 v1, vcc_lo, v1, v7
	v_add_co_ci_u32_e64 v2, null, v2, v8, vcc_lo
	ds_read2_b64 v[5:8], v3 offset0:6 offset1:7
	s_waitcnt lgkmcnt(2)
	v_add_co_u32 v1, vcc_lo, v1, v9
	v_add_co_ci_u32_e64 v2, null, v2, v10, vcc_lo
	v_add_co_u32 v1, vcc_lo, v1, v11
	v_add_co_ci_u32_e64 v2, null, v2, v12, vcc_lo
	s_waitcnt lgkmcnt(1)
	v_add_co_u32 v1, vcc_lo, v1, v13
	v_add_co_ci_u32_e64 v2, null, v2, v14, vcc_lo
	v_add_co_u32 v1, vcc_lo, v1, v15
	v_add_co_ci_u32_e64 v2, null, v2, v16, vcc_lo
	;; [unrolled: 5-line block ×3, first 2 shown]
	s_cbranch_scc1 .LBB33_22
.LBB33_23:
	s_inst_prefetch 0x2
	s_and_b32 s0, s10, 7
	s_mov_b32 s1, 0
	s_cmp_eq_u64 s[0:1], 0
	s_cbranch_scc1 .LBB33_26
; %bb.24:
	s_lshl_b32 s2, s8, 3
.LBB33_25:                              ; =>This Inner Loop Header: Depth=1
	v_mov_b32_e32 v3, s2
	s_add_i32 s2, s2, 8
	s_add_u32 s0, s0, -1
	s_addc_u32 s1, s1, -1
	s_cmp_lg_u64 s[0:1], 0
	ds_read_b64 v[5:6], v3
	s_waitcnt lgkmcnt(0)
	v_add_co_u32 v1, vcc_lo, v1, v5
	v_add_co_ci_u32_e64 v2, null, v2, v6, vcc_lo
	s_cbranch_scc1 .LBB33_25
.LBB33_26:
	v_mov_b32_e32 v3, 0
	s_waitcnt lgkmcnt(0)
	ds_write_b64 v3, v[1:2]
.LBB33_27:
	s_or_b32 exec_lo, exec_lo, s9
	s_mov_b32 s1, 0
	s_waitcnt lgkmcnt(0)
	s_barrier
.LBB33_28:
	s_and_b32 vcc_lo, exec_lo, s1
	s_cbranch_vccz .LBB33_46
; %bb.29:
	s_mov_b32 s0, exec_lo
	s_barrier
	buffer_gl0_inv
	v_cmpx_gt_u32_e32 0x80, v0
	s_cbranch_execz .LBB33_31
; %bb.30:
	ds_read2st64_b64 v[5:8], v4 offset1:2
	s_waitcnt lgkmcnt(0)
	v_add_co_u32 v1, vcc_lo, v5, v7
	v_add_co_ci_u32_e64 v2, null, v6, v8, vcc_lo
	ds_write_b64 v4, v[1:2]
.LBB33_31:
	s_or_b32 exec_lo, exec_lo, s0
	s_mov_b32 s0, exec_lo
	s_waitcnt lgkmcnt(0)
	s_barrier
	buffer_gl0_inv
	v_cmpx_gt_u32_e32 64, v0
	s_cbranch_execz .LBB33_33
; %bb.32:
	ds_read2st64_b64 v[5:8], v4 offset1:1
	s_waitcnt lgkmcnt(0)
	v_add_co_u32 v1, vcc_lo, v5, v7
	v_add_co_ci_u32_e64 v2, null, v6, v8, vcc_lo
	ds_write_b64 v4, v[1:2]
.LBB33_33:
	s_or_b32 exec_lo, exec_lo, s0
	s_mov_b32 s0, exec_lo
	s_waitcnt lgkmcnt(0)
	s_barrier
	buffer_gl0_inv
	v_cmpx_gt_u32_e32 32, v0
	s_cbranch_execz .LBB33_35
; %bb.34:
	ds_read2_b64 v[5:8], v4 offset1:32
	s_waitcnt lgkmcnt(0)
	v_add_co_u32 v1, vcc_lo, v5, v7
	v_add_co_ci_u32_e64 v2, null, v6, v8, vcc_lo
	ds_write_b64 v4, v[1:2]
.LBB33_35:
	s_or_b32 exec_lo, exec_lo, s0
	s_mov_b32 s0, exec_lo
	s_waitcnt lgkmcnt(0)
	s_barrier
	buffer_gl0_inv
	v_cmpx_gt_u32_e32 16, v0
	s_cbranch_execz .LBB33_37
; %bb.36:
	ds_read2_b64 v[5:8], v4 offset1:16
	s_waitcnt lgkmcnt(0)
	v_add_co_u32 v1, vcc_lo, v5, v7
	v_add_co_ci_u32_e64 v2, null, v6, v8, vcc_lo
	ds_write_b64 v4, v[1:2]
.LBB33_37:
	;; [unrolled: 14-line block ×5, first 2 shown]
	s_or_b32 exec_lo, exec_lo, s0
	s_mov_b32 s0, exec_lo
	s_waitcnt lgkmcnt(0)
	s_barrier
	buffer_gl0_inv
	v_cmpx_eq_u32_e32 0, v0
	s_cbranch_execz .LBB33_45
; %bb.44:
	v_mov_b32_e32 v5, 0
	ds_read_b128 v[1:4], v5
	s_waitcnt lgkmcnt(0)
	v_add_co_u32 v1, vcc_lo, v1, v3
	v_add_co_ci_u32_e64 v2, null, v2, v4, vcc_lo
	ds_write_b64 v5, v[1:2]
.LBB33_45:
	s_or_b32 exec_lo, exec_lo, s0
	s_waitcnt lgkmcnt(0)
	s_barrier
.LBB33_46:
	buffer_gl0_inv
	s_mov_b32 s0, exec_lo
	v_cmpx_eq_u32_e32 0, v0
	s_cbranch_execz .LBB33_48
; %bb.47:
	v_mov_b32_e32 v2, 0
	s_load_dwordx2 s[0:1], s[4:5], 0x28
	s_lshl_b64 s[2:3], s[6:7], 3
	ds_read_b64 v[0:1], v2
	s_waitcnt lgkmcnt(0)
	s_add_u32 s0, s0, s2
	s_addc_u32 s1, s1, s3
	global_store_dwordx2 v2, v[0:1], s[0:1]
.LBB33_48:
	s_endpgm
	.section	.rodata,"a",@progbits
	.p2align	6, 0x0
	.amdhsa_kernel _ZN9rocsparseL14nnz_kernel_colILi256Ell21rocsparse_complex_numIfEEEv16rocsparse_order_T1_S4_PKT2_lPT0_
		.amdhsa_group_segment_fixed_size 2048
		.amdhsa_private_segment_fixed_size 0
		.amdhsa_kernarg_size 48
		.amdhsa_user_sgpr_count 6
		.amdhsa_user_sgpr_private_segment_buffer 1
		.amdhsa_user_sgpr_dispatch_ptr 0
		.amdhsa_user_sgpr_queue_ptr 0
		.amdhsa_user_sgpr_kernarg_segment_ptr 1
		.amdhsa_user_sgpr_dispatch_id 0
		.amdhsa_user_sgpr_flat_scratch_init 0
		.amdhsa_user_sgpr_private_segment_size 0
		.amdhsa_wavefront_size32 1
		.amdhsa_uses_dynamic_stack 0
		.amdhsa_system_sgpr_private_segment_wavefront_offset 0
		.amdhsa_system_sgpr_workgroup_id_x 1
		.amdhsa_system_sgpr_workgroup_id_y 0
		.amdhsa_system_sgpr_workgroup_id_z 0
		.amdhsa_system_sgpr_workgroup_info 0
		.amdhsa_system_vgpr_workitem_id 0
		.amdhsa_next_free_vgpr 17
		.amdhsa_next_free_sgpr 18
		.amdhsa_reserve_vcc 1
		.amdhsa_reserve_flat_scratch 0
		.amdhsa_float_round_mode_32 0
		.amdhsa_float_round_mode_16_64 0
		.amdhsa_float_denorm_mode_32 3
		.amdhsa_float_denorm_mode_16_64 3
		.amdhsa_dx10_clamp 1
		.amdhsa_ieee_mode 1
		.amdhsa_fp16_overflow 0
		.amdhsa_workgroup_processor_mode 1
		.amdhsa_memory_ordered 1
		.amdhsa_forward_progress 1
		.amdhsa_shared_vgpr_count 0
		.amdhsa_exception_fp_ieee_invalid_op 0
		.amdhsa_exception_fp_denorm_src 0
		.amdhsa_exception_fp_ieee_div_zero 0
		.amdhsa_exception_fp_ieee_overflow 0
		.amdhsa_exception_fp_ieee_underflow 0
		.amdhsa_exception_fp_ieee_inexact 0
		.amdhsa_exception_int_div_zero 0
	.end_amdhsa_kernel
	.section	.text._ZN9rocsparseL14nnz_kernel_colILi256Ell21rocsparse_complex_numIfEEEv16rocsparse_order_T1_S4_PKT2_lPT0_,"axG",@progbits,_ZN9rocsparseL14nnz_kernel_colILi256Ell21rocsparse_complex_numIfEEEv16rocsparse_order_T1_S4_PKT2_lPT0_,comdat
.Lfunc_end33:
	.size	_ZN9rocsparseL14nnz_kernel_colILi256Ell21rocsparse_complex_numIfEEEv16rocsparse_order_T1_S4_PKT2_lPT0_, .Lfunc_end33-_ZN9rocsparseL14nnz_kernel_colILi256Ell21rocsparse_complex_numIfEEEv16rocsparse_order_T1_S4_PKT2_lPT0_
                                        ; -- End function
	.set _ZN9rocsparseL14nnz_kernel_colILi256Ell21rocsparse_complex_numIfEEEv16rocsparse_order_T1_S4_PKT2_lPT0_.num_vgpr, 17
	.set _ZN9rocsparseL14nnz_kernel_colILi256Ell21rocsparse_complex_numIfEEEv16rocsparse_order_T1_S4_PKT2_lPT0_.num_agpr, 0
	.set _ZN9rocsparseL14nnz_kernel_colILi256Ell21rocsparse_complex_numIfEEEv16rocsparse_order_T1_S4_PKT2_lPT0_.numbered_sgpr, 18
	.set _ZN9rocsparseL14nnz_kernel_colILi256Ell21rocsparse_complex_numIfEEEv16rocsparse_order_T1_S4_PKT2_lPT0_.num_named_barrier, 0
	.set _ZN9rocsparseL14nnz_kernel_colILi256Ell21rocsparse_complex_numIfEEEv16rocsparse_order_T1_S4_PKT2_lPT0_.private_seg_size, 0
	.set _ZN9rocsparseL14nnz_kernel_colILi256Ell21rocsparse_complex_numIfEEEv16rocsparse_order_T1_S4_PKT2_lPT0_.uses_vcc, 1
	.set _ZN9rocsparseL14nnz_kernel_colILi256Ell21rocsparse_complex_numIfEEEv16rocsparse_order_T1_S4_PKT2_lPT0_.uses_flat_scratch, 0
	.set _ZN9rocsparseL14nnz_kernel_colILi256Ell21rocsparse_complex_numIfEEEv16rocsparse_order_T1_S4_PKT2_lPT0_.has_dyn_sized_stack, 0
	.set _ZN9rocsparseL14nnz_kernel_colILi256Ell21rocsparse_complex_numIfEEEv16rocsparse_order_T1_S4_PKT2_lPT0_.has_recursion, 0
	.set _ZN9rocsparseL14nnz_kernel_colILi256Ell21rocsparse_complex_numIfEEEv16rocsparse_order_T1_S4_PKT2_lPT0_.has_indirect_call, 0
	.section	.AMDGPU.csdata,"",@progbits
; Kernel info:
; codeLenInByte = 2036
; TotalNumSgprs: 20
; NumVgprs: 17
; ScratchSize: 0
; MemoryBound: 0
; FloatMode: 240
; IeeeMode: 1
; LDSByteSize: 2048 bytes/workgroup (compile time only)
; SGPRBlocks: 0
; VGPRBlocks: 2
; NumSGPRsForWavesPerEU: 20
; NumVGPRsForWavesPerEU: 17
; Occupancy: 16
; WaveLimiterHint : 0
; COMPUTE_PGM_RSRC2:SCRATCH_EN: 0
; COMPUTE_PGM_RSRC2:USER_SGPR: 6
; COMPUTE_PGM_RSRC2:TRAP_HANDLER: 0
; COMPUTE_PGM_RSRC2:TGID_X_EN: 1
; COMPUTE_PGM_RSRC2:TGID_Y_EN: 0
; COMPUTE_PGM_RSRC2:TGID_Z_EN: 0
; COMPUTE_PGM_RSRC2:TIDIG_COMP_CNT: 0
	.section	.text._ZN9rocsparseL14nnz_kernel_rowILi64ELi16Ell21rocsparse_complex_numIdEEEv16rocsparse_order_T2_S4_PKT3_lPT1_,"axG",@progbits,_ZN9rocsparseL14nnz_kernel_rowILi64ELi16Ell21rocsparse_complex_numIdEEEv16rocsparse_order_T2_S4_PKT3_lPT1_,comdat
	.globl	_ZN9rocsparseL14nnz_kernel_rowILi64ELi16Ell21rocsparse_complex_numIdEEEv16rocsparse_order_T2_S4_PKT3_lPT1_ ; -- Begin function _ZN9rocsparseL14nnz_kernel_rowILi64ELi16Ell21rocsparse_complex_numIdEEEv16rocsparse_order_T2_S4_PKT3_lPT1_
	.p2align	8
	.type	_ZN9rocsparseL14nnz_kernel_rowILi64ELi16Ell21rocsparse_complex_numIdEEEv16rocsparse_order_T2_S4_PKT3_lPT1_,@function
_ZN9rocsparseL14nnz_kernel_rowILi64ELi16Ell21rocsparse_complex_numIdEEEv16rocsparse_order_T2_S4_PKT3_lPT1_: ; @_ZN9rocsparseL14nnz_kernel_rowILi64ELi16Ell21rocsparse_complex_numIdEEEv16rocsparse_order_T2_S4_PKT3_lPT1_
; %bb.0:
	s_clause 0x3
	s_load_dword s0, s[4:5], 0x3c
	s_load_dwordx8 s[8:15], s[4:5], 0x8
	s_load_dwordx2 s[16:17], s[4:5], 0x28
	s_load_dword s25, s[4:5], 0x0
	s_lshl_b32 s24, s6, 8
	v_mov_b32_e32 v21, 0
	s_mov_b32 s27, 0
	s_mov_b32 s26, exec_lo
	v_mov_b32_e32 v19, v21
	v_mov_b32_e32 v2, v21
	;; [unrolled: 1-line block ×9, first 2 shown]
	s_waitcnt lgkmcnt(0)
	s_and_b32 s0, s0, 0xffff
	v_mad_u32_u24 v32, v1, s0, v0
	s_ashr_i32 s0, s11, 31
	s_lshr_b32 s0, s0, 26
	s_add_u32 s0, s10, s0
	v_and_b32_e32 v33, 63, v32
	v_lshrrev_b32_e32 v0, 4, v32
	s_addc_u32 s21, s11, 0
	s_and_b32 s20, s0, 0xffffffc0
	v_or_b32_e32 v20, s24, v33
	v_and_b32_e32 v18, 0x7ffffc, v0
	s_sub_u32 s18, s10, s20
	s_subb_u32 s19, s11, s21
	v_or_b32_e32 v24, 64, v20
	v_or_b32_e32 v22, 0x80, v20
	;; [unrolled: 1-line block ×3, first 2 shown]
	v_cmpx_gt_i64_e64 s[20:21], v[18:19]
	s_cbranch_execz .LBB34_28
; %bb.1:
	v_add_co_u32 v3, s0, s24, v33
	v_add_co_ci_u32_e64 v4, null, 0, 0, s0
	v_mov_b32_e32 v1, v21
	v_mul_lo_u32 v2, s15, v3
	v_mad_u64_u32 v[5:6], null, s14, v3, 0
	v_mul_lo_u32 v7, s14, v4
	v_and_b32_e32 v17, 0x7ffffc0, v32
	v_cmp_gt_i64_e64 s3, s[8:9], v[0:1]
	v_mov_b32_e32 v23, v21
	v_lshrrev_b32_e32 v13, 6, v32
	v_mov_b32_e32 v25, v21
	v_or_b32_e32 v11, 48, v17
	v_or_b32_e32 v14, 32, v17
	v_add3_u32 v6, v6, v7, v2
	v_add_co_u32 v7, vcc_lo, v3, 64
	v_add_co_ci_u32_e64 v8, null, 0, v4, vcc_lo
	v_lshlrev_b64 v[1:2], 4, v[5:6]
	v_mul_lo_u32 v9, s15, v7
	v_mad_u64_u32 v[5:6], null, s14, v7, 0
	v_mul_lo_u32 v10, s14, v8
	v_lshlrev_b64 v[7:8], 4, v[3:4]
	v_cmp_gt_i64_e64 s2, s[8:9], v[22:23]
	v_add_co_u32 v23, vcc_lo, v1, v17
	v_add_co_ci_u32_e64 v29, null, 0, v2, vcc_lo
	v_mad_u64_u32 v[1:2], null, s14, v11, v[7:8]
	v_or_b32_e32 v15, 16, v17
	v_add3_u32 v6, v6, v10, v9
	v_mad_u64_u32 v[9:10], null, s14, v13, 0
	v_cmp_gt_i64_e64 s1, s[8:9], v[24:25]
	v_mad_u64_u32 v[25:26], null, s14, v14, v[7:8]
	v_mad_u64_u32 v[11:12], null, s15, v11, v[2:3]
	;; [unrolled: 1-line block ×3, first 2 shown]
	v_lshlrev_b64 v[5:6], 4, v[5:6]
	v_cmp_gt_i64_e64 s0, s[8:9], v[20:21]
	v_mov_b32_e32 v2, v26
	s_cmp_lg_u32 s25, 1
	v_mad_u64_u32 v[12:13], null, s15, v13, v[10:11]
	v_mov_b32_e32 v10, v28
	v_mad_u64_u32 v[13:14], null, s15, v14, v[2:3]
	v_add_co_u32 v2, vcc_lo, 0x80, v3
	v_mad_u64_u32 v[14:15], null, s15, v15, v[10:11]
	v_mov_b32_e32 v10, v12
	v_add_co_ci_u32_e64 v12, null, 0, v4, vcc_lo
	v_add_co_u32 v15, vcc_lo, 0xc0, v3
	v_add_co_ci_u32_e64 v4, null, 0, v4, vcc_lo
	v_mul_lo_u32 v30, s15, v2
	v_mul_lo_u32 v12, s14, v12
	v_mad_u64_u32 v[2:3], null, s14, v2, 0
	v_mul_lo_u32 v35, s15, v15
	v_mul_lo_u32 v36, s14, v4
	v_mad_u64_u32 v[15:16], null, s14, v15, 0
	v_add_co_u32 v26, vcc_lo, v5, v17
	v_lshlrev_b64 v[4:5], 6, v[9:10]
	v_add3_u32 v3, v3, v12, v30
	v_add_co_ci_u32_e64 v28, null, 0, v6, vcc_lo
	v_add3_u32 v16, v16, v36, v35
	v_mov_b32_e32 v30, v11
	v_lshlrev_b64 v[2:3], 4, v[2:3]
	v_add_co_u32 v35, vcc_lo, v4, v7
	v_add_co_ci_u32_e64 v36, null, v5, v8, vcc_lo
	v_lshlrev_b64 v[4:5], 4, v[15:16]
	v_add_co_u32 v37, vcc_lo, v2, v17
	v_add_co_ci_u32_e64 v38, null, 0, v3, vcc_lo
	v_mov_b32_e32 v31, v13
	v_add_co_u32 v39, vcc_lo, v4, v17
	v_mov_b32_e32 v34, v14
	v_add_co_ci_u32_e64 v40, null, 0, v5, vcc_lo
	v_mov_b32_e32 v2, v21
	v_mov_b32_e32 v3, v21
	v_mov_b32_e32 v4, v21
	v_mov_b32_e32 v5, v21
	v_mov_b32_e32 v6, v21
	v_mov_b32_e32 v7, v21
	v_mov_b32_e32 v8, v21
	v_mov_b32_e32 v9, v21
	s_cselect_b32 s28, -1, 0
	s_lshl_b64 s[22:23], s[14:15], 10
	s_branch .LBB34_4
.LBB34_2:                               ;   in Loop: Header=BB34_4 Depth=1
	v_mov_b32_e32 v2, v10
	v_mov_b32_e32 v3, v11
	;; [unrolled: 1-line block ×8, first 2 shown]
.LBB34_3:                               ;   in Loop: Header=BB34_4 Depth=1
	s_or_b32 exec_lo, exec_lo, s29
	v_add_co_u32 v18, vcc_lo, v18, 64
	v_add_co_ci_u32_e64 v19, null, 0, v19, vcc_lo
	v_add_co_u32 v23, vcc_lo, 0x400, v23
	v_add_co_ci_u32_e64 v29, null, 0, v29, vcc_lo
	;; [unrolled: 2-line block ×8, first 2 shown]
	v_cmp_le_i64_e32 vcc_lo, s[20:21], v[18:19]
	v_add_co_u32 v39, s4, 0x400, v39
	v_add_co_ci_u32_e64 v40, null, 0, v40, s4
	s_or_b32 s27, vcc_lo, s27
	s_andn2_b32 exec_lo, exec_lo, s27
	s_cbranch_execz .LBB34_27
.LBB34_4:                               ; =>This Inner Loop Header: Depth=1
	s_and_saveexec_b32 s29, s0
	s_cbranch_execnz .LBB34_8
; %bb.5:                                ;   in Loop: Header=BB34_4 Depth=1
	s_or_b32 exec_lo, exec_lo, s29
	s_and_saveexec_b32 s29, s1
	s_cbranch_execnz .LBB34_13
.LBB34_6:                               ;   in Loop: Header=BB34_4 Depth=1
	s_or_b32 exec_lo, exec_lo, s29
	s_and_saveexec_b32 s29, s2
	s_cbranch_execnz .LBB34_18
.LBB34_7:                               ;   in Loop: Header=BB34_4 Depth=1
	s_or_b32 exec_lo, exec_lo, s29
	s_and_saveexec_b32 s29, s3
	s_cbranch_execz .LBB34_3
	s_branch .LBB34_23
.LBB34_8:                               ;   in Loop: Header=BB34_4 Depth=1
	s_andn2_b32 vcc_lo, exec_lo, s28
	s_mov_b32 s4, -1
                                        ; implicit-def: $vgpr10_vgpr11_vgpr12_vgpr13_vgpr14_vgpr15_vgpr16_vgpr17
	s_cbranch_vccnz .LBB34_10
; %bb.9:                                ;   in Loop: Header=BB34_4 Depth=1
	v_add_co_u32 v45, vcc_lo, s12, v23
	v_add_co_ci_u32_e64 v46, null, s13, v29, vcc_lo
	s_clause 0x3
	global_load_dwordx4 v[10:13], v[45:46], off
	global_load_dwordx4 v[14:17], v[45:46], off offset:16
	global_load_dwordx4 v[41:44], v[45:46], off offset:32
	;; [unrolled: 1-line block ×3, first 2 shown]
	s_waitcnt vmcnt(3)
	v_cmp_neq_f64_e32 vcc_lo, 0, v[10:11]
	v_cmp_neq_f64_e64 s4, 0, v[12:13]
	s_waitcnt vmcnt(2)
	v_cmp_neq_f64_e64 s5, 0, v[14:15]
	v_cmp_neq_f64_e64 s6, 0, v[16:17]
	v_add_co_u32 v10, s7, v2, 1
	v_add_co_ci_u32_e64 v11, null, 0, v3, s7
	v_mov_b32_e32 v14, v6
	v_mov_b32_e32 v15, v7
	;; [unrolled: 1-line block ×3, first 2 shown]
	s_or_b32 vcc_lo, vcc_lo, s4
	s_waitcnt vmcnt(1)
	v_cmp_neq_f64_e64 s4, 0, v[43:44]
	v_cndmask_b32_e32 v11, v3, v11, vcc_lo
	v_cndmask_b32_e32 v10, v2, v10, vcc_lo
	v_cmp_neq_f64_e32 vcc_lo, 0, v[41:42]
	s_or_b32 s5, s5, s6
	s_waitcnt vmcnt(0)
	v_cmp_neq_f64_e64 s6, 0, v[47:48]
	v_add_co_u32 v12, s7, v10, 1
	v_add_co_ci_u32_e64 v13, null, 0, v11, s7
	v_cndmask_b32_e64 v10, v10, v12, s5
	v_cndmask_b32_e64 v11, v11, v13, s5
	v_cmp_neq_f64_e64 s5, 0, v[45:46]
	v_add_co_u32 v12, s7, v10, 1
	v_add_co_ci_u32_e64 v13, null, 0, v11, s7
	s_or_b32 vcc_lo, vcc_lo, s4
	s_mov_b32 s4, 0
	v_cndmask_b32_e32 v10, v10, v12, vcc_lo
	v_cndmask_b32_e32 v11, v11, v13, vcc_lo
	v_mov_b32_e32 v12, v4
	v_mov_b32_e32 v13, v5
	v_add_co_u32 v17, vcc_lo, v10, 1
	v_add_co_ci_u32_e64 v41, null, 0, v11, vcc_lo
	s_or_b32 vcc_lo, s5, s6
	v_cndmask_b32_e32 v11, v11, v41, vcc_lo
	v_cndmask_b32_e32 v10, v10, v17, vcc_lo
	v_mov_b32_e32 v17, v9
.LBB34_10:                              ;   in Loop: Header=BB34_4 Depth=1
	s_andn2_b32 vcc_lo, exec_lo, s4
	s_cbranch_vccnz .LBB34_12
; %bb.11:                               ;   in Loop: Header=BB34_4 Depth=1
	v_add_co_u32 v10, vcc_lo, s12, v35
	v_add_co_ci_u32_e64 v11, null, s13, v36, vcc_lo
	v_add_co_u32 v14, vcc_lo, s12, v27
	v_add_co_ci_u32_e64 v15, null, s13, v34, vcc_lo
	global_load_dwordx4 v[10:13], v[10:11], off
	v_add_co_u32 v41, vcc_lo, s12, v25
	global_load_dwordx4 v[14:17], v[14:15], off
	v_add_co_ci_u32_e64 v42, null, s13, v31, vcc_lo
	v_add_co_u32 v45, vcc_lo, s12, v1
	v_add_co_ci_u32_e64 v46, null, s13, v30, vcc_lo
	s_clause 0x1
	global_load_dwordx4 v[41:44], v[41:42], off
	global_load_dwordx4 v[45:48], v[45:46], off
	s_waitcnt vmcnt(3)
	v_cmp_neq_f64_e32 vcc_lo, 0, v[10:11]
	v_cmp_neq_f64_e64 s4, 0, v[12:13]
	v_add_co_u32 v10, s7, v2, 1
	s_waitcnt vmcnt(2)
	v_cmp_neq_f64_e64 s5, 0, v[14:15]
	v_cmp_neq_f64_e64 s6, 0, v[16:17]
	v_add_co_ci_u32_e64 v11, null, 0, v3, s7
	s_or_b32 vcc_lo, vcc_lo, s4
	s_waitcnt vmcnt(1)
	v_cmp_neq_f64_e64 s4, 0, v[43:44]
	v_cndmask_b32_e32 v3, v3, v11, vcc_lo
	v_cndmask_b32_e32 v2, v2, v10, vcc_lo
	v_cmp_neq_f64_e32 vcc_lo, 0, v[41:42]
	s_or_b32 s5, s5, s6
	s_waitcnt vmcnt(0)
	v_cmp_neq_f64_e64 s6, 0, v[47:48]
	v_add_co_u32 v10, s7, v2, 1
	v_add_co_ci_u32_e64 v11, null, 0, v3, s7
	v_cndmask_b32_e64 v2, v2, v10, s5
	v_cndmask_b32_e64 v3, v3, v11, s5
	v_cmp_neq_f64_e64 s5, 0, v[45:46]
	v_add_co_u32 v10, s7, v2, 1
	v_add_co_ci_u32_e64 v11, null, 0, v3, s7
	s_or_b32 vcc_lo, vcc_lo, s4
	v_cndmask_b32_e32 v2, v2, v10, vcc_lo
	v_cndmask_b32_e32 v3, v3, v11, vcc_lo
	v_add_co_u32 v10, vcc_lo, v2, 1
	v_add_co_ci_u32_e64 v11, null, 0, v3, vcc_lo
	s_or_b32 vcc_lo, s5, s6
	v_cndmask_b32_e32 v3, v3, v11, vcc_lo
	v_cndmask_b32_e32 v2, v2, v10, vcc_lo
	v_mov_b32_e32 v17, v9
	v_mov_b32_e32 v16, v8
	;; [unrolled: 1-line block ×8, first 2 shown]
.LBB34_12:                              ;   in Loop: Header=BB34_4 Depth=1
	v_mov_b32_e32 v2, v10
	v_mov_b32_e32 v3, v11
	;; [unrolled: 1-line block ×8, first 2 shown]
	s_or_b32 exec_lo, exec_lo, s29
	s_and_saveexec_b32 s29, s1
	s_cbranch_execz .LBB34_6
.LBB34_13:                              ;   in Loop: Header=BB34_4 Depth=1
	s_andn2_b32 vcc_lo, exec_lo, s28
	s_mov_b32 s4, -1
                                        ; implicit-def: $vgpr10_vgpr11_vgpr12_vgpr13_vgpr14_vgpr15_vgpr16_vgpr17
	s_cbranch_vccnz .LBB34_15
; %bb.14:                               ;   in Loop: Header=BB34_4 Depth=1
	v_add_co_u32 v45, vcc_lo, s12, v26
	v_add_co_ci_u32_e64 v46, null, s13, v28, vcc_lo
	s_clause 0x3
	global_load_dwordx4 v[10:13], v[45:46], off
	global_load_dwordx4 v[14:17], v[45:46], off offset:16
	global_load_dwordx4 v[41:44], v[45:46], off offset:32
	;; [unrolled: 1-line block ×3, first 2 shown]
	s_waitcnt vmcnt(3)
	v_cmp_neq_f64_e32 vcc_lo, 0, v[10:11]
	v_cmp_neq_f64_e64 s4, 0, v[12:13]
	s_waitcnt vmcnt(2)
	v_cmp_neq_f64_e64 s5, 0, v[14:15]
	v_cmp_neq_f64_e64 s6, 0, v[16:17]
	v_add_co_u32 v10, s7, v4, 1
	v_add_co_ci_u32_e64 v11, null, 0, v5, s7
	v_mov_b32_e32 v14, v6
	v_mov_b32_e32 v15, v7
	;; [unrolled: 1-line block ×3, first 2 shown]
	s_or_b32 vcc_lo, vcc_lo, s4
	s_waitcnt vmcnt(1)
	v_cmp_neq_f64_e64 s4, 0, v[43:44]
	v_cndmask_b32_e32 v11, v5, v11, vcc_lo
	v_cndmask_b32_e32 v10, v4, v10, vcc_lo
	v_cmp_neq_f64_e32 vcc_lo, 0, v[41:42]
	s_or_b32 s5, s5, s6
	s_waitcnt vmcnt(0)
	v_cmp_neq_f64_e64 s6, 0, v[47:48]
	v_add_co_u32 v12, s7, v10, 1
	v_add_co_ci_u32_e64 v13, null, 0, v11, s7
	v_cndmask_b32_e64 v10, v10, v12, s5
	v_cndmask_b32_e64 v11, v11, v13, s5
	v_cmp_neq_f64_e64 s5, 0, v[45:46]
	v_add_co_u32 v12, s7, v10, 1
	v_add_co_ci_u32_e64 v13, null, 0, v11, s7
	s_or_b32 vcc_lo, vcc_lo, s4
	s_mov_b32 s4, 0
	v_cndmask_b32_e32 v12, v10, v12, vcc_lo
	v_cndmask_b32_e32 v13, v11, v13, vcc_lo
	v_mov_b32_e32 v10, v2
	v_mov_b32_e32 v11, v3
	v_add_co_u32 v17, vcc_lo, v12, 1
	v_add_co_ci_u32_e64 v41, null, 0, v13, vcc_lo
	s_or_b32 vcc_lo, s5, s6
	v_cndmask_b32_e32 v13, v13, v41, vcc_lo
	v_cndmask_b32_e32 v12, v12, v17, vcc_lo
	v_mov_b32_e32 v17, v9
.LBB34_15:                              ;   in Loop: Header=BB34_4 Depth=1
	s_andn2_b32 vcc_lo, exec_lo, s4
	s_cbranch_vccnz .LBB34_17
; %bb.16:                               ;   in Loop: Header=BB34_4 Depth=1
	v_add_co_u32 v10, vcc_lo, s12, v35
	v_add_co_ci_u32_e64 v11, null, s13, v36, vcc_lo
	v_add_co_u32 v14, vcc_lo, s12, v27
	v_add_co_ci_u32_e64 v15, null, s13, v34, vcc_lo
	global_load_dwordx4 v[10:13], v[10:11], off offset:1024
	v_add_co_u32 v41, vcc_lo, s12, v25
	global_load_dwordx4 v[14:17], v[14:15], off offset:1024
	v_add_co_ci_u32_e64 v42, null, s13, v31, vcc_lo
	v_add_co_u32 v45, vcc_lo, s12, v1
	v_add_co_ci_u32_e64 v46, null, s13, v30, vcc_lo
	s_clause 0x1
	global_load_dwordx4 v[41:44], v[41:42], off offset:1024
	global_load_dwordx4 v[45:48], v[45:46], off offset:1024
	s_waitcnt vmcnt(3)
	v_cmp_neq_f64_e32 vcc_lo, 0, v[10:11]
	v_cmp_neq_f64_e64 s4, 0, v[12:13]
	v_add_co_u32 v10, s7, v4, 1
	s_waitcnt vmcnt(2)
	v_cmp_neq_f64_e64 s5, 0, v[14:15]
	v_cmp_neq_f64_e64 s6, 0, v[16:17]
	v_add_co_ci_u32_e64 v11, null, 0, v5, s7
	s_or_b32 vcc_lo, vcc_lo, s4
	s_waitcnt vmcnt(1)
	v_cmp_neq_f64_e64 s4, 0, v[43:44]
	v_cndmask_b32_e32 v5, v5, v11, vcc_lo
	v_cndmask_b32_e32 v4, v4, v10, vcc_lo
	v_cmp_neq_f64_e32 vcc_lo, 0, v[41:42]
	s_or_b32 s5, s5, s6
	s_waitcnt vmcnt(0)
	v_cmp_neq_f64_e64 s6, 0, v[47:48]
	v_add_co_u32 v10, s7, v4, 1
	v_add_co_ci_u32_e64 v11, null, 0, v5, s7
	v_cndmask_b32_e64 v4, v4, v10, s5
	v_cndmask_b32_e64 v5, v5, v11, s5
	v_cmp_neq_f64_e64 s5, 0, v[45:46]
	v_add_co_u32 v10, s7, v4, 1
	v_add_co_ci_u32_e64 v11, null, 0, v5, s7
	s_or_b32 vcc_lo, vcc_lo, s4
	v_cndmask_b32_e32 v4, v4, v10, vcc_lo
	v_cndmask_b32_e32 v5, v5, v11, vcc_lo
	v_add_co_u32 v10, vcc_lo, v4, 1
	v_add_co_ci_u32_e64 v11, null, 0, v5, vcc_lo
	s_or_b32 vcc_lo, s5, s6
	v_cndmask_b32_e32 v5, v5, v11, vcc_lo
	v_cndmask_b32_e32 v4, v4, v10, vcc_lo
	v_mov_b32_e32 v17, v9
	v_mov_b32_e32 v16, v8
	;; [unrolled: 1-line block ×8, first 2 shown]
.LBB34_17:                              ;   in Loop: Header=BB34_4 Depth=1
	v_mov_b32_e32 v2, v10
	v_mov_b32_e32 v3, v11
	;; [unrolled: 1-line block ×8, first 2 shown]
	s_or_b32 exec_lo, exec_lo, s29
	s_and_saveexec_b32 s29, s2
	s_cbranch_execz .LBB34_7
.LBB34_18:                              ;   in Loop: Header=BB34_4 Depth=1
	s_andn2_b32 vcc_lo, exec_lo, s28
	s_mov_b32 s4, -1
                                        ; implicit-def: $vgpr10_vgpr11_vgpr12_vgpr13_vgpr14_vgpr15_vgpr16_vgpr17
	s_cbranch_vccnz .LBB34_20
; %bb.19:                               ;   in Loop: Header=BB34_4 Depth=1
	v_add_co_u32 v45, vcc_lo, s12, v37
	v_add_co_ci_u32_e64 v46, null, s13, v38, vcc_lo
	s_clause 0x3
	global_load_dwordx4 v[10:13], v[45:46], off
	global_load_dwordx4 v[14:17], v[45:46], off offset:16
	global_load_dwordx4 v[41:44], v[45:46], off offset:32
	;; [unrolled: 1-line block ×3, first 2 shown]
	s_waitcnt vmcnt(3)
	v_cmp_neq_f64_e32 vcc_lo, 0, v[10:11]
	v_cmp_neq_f64_e64 s4, 0, v[12:13]
	s_waitcnt vmcnt(2)
	v_cmp_neq_f64_e64 s5, 0, v[14:15]
	v_cmp_neq_f64_e64 s6, 0, v[16:17]
	v_add_co_u32 v10, s7, v6, 1
	v_add_co_ci_u32_e64 v11, null, 0, v7, s7
	v_mov_b32_e32 v16, v8
	s_or_b32 vcc_lo, vcc_lo, s4
	s_waitcnt vmcnt(1)
	v_cmp_neq_f64_e64 s4, 0, v[43:44]
	v_cndmask_b32_e32 v11, v7, v11, vcc_lo
	v_cndmask_b32_e32 v10, v6, v10, vcc_lo
	v_cmp_neq_f64_e32 vcc_lo, 0, v[41:42]
	s_or_b32 s5, s5, s6
	s_waitcnt vmcnt(0)
	v_cmp_neq_f64_e64 s6, 0, v[47:48]
	v_add_co_u32 v12, s7, v10, 1
	v_add_co_ci_u32_e64 v13, null, 0, v11, s7
	v_cndmask_b32_e64 v10, v10, v12, s5
	v_cndmask_b32_e64 v11, v11, v13, s5
	v_cmp_neq_f64_e64 s5, 0, v[45:46]
	v_add_co_u32 v12, s7, v10, 1
	v_add_co_ci_u32_e64 v13, null, 0, v11, s7
	s_or_b32 vcc_lo, vcc_lo, s4
	s_mov_b32 s4, 0
	v_cndmask_b32_e32 v17, v10, v12, vcc_lo
	v_cndmask_b32_e32 v14, v11, v13, vcc_lo
	v_mov_b32_e32 v10, v2
	v_mov_b32_e32 v11, v3
	;; [unrolled: 1-line block ×3, first 2 shown]
	v_add_co_u32 v41, vcc_lo, v17, 1
	v_add_co_ci_u32_e64 v15, null, 0, v14, vcc_lo
	v_mov_b32_e32 v13, v5
	s_or_b32 vcc_lo, s5, s6
	v_cndmask_b32_e32 v15, v14, v15, vcc_lo
	v_cndmask_b32_e32 v14, v17, v41, vcc_lo
	v_mov_b32_e32 v17, v9
.LBB34_20:                              ;   in Loop: Header=BB34_4 Depth=1
	s_andn2_b32 vcc_lo, exec_lo, s4
	s_cbranch_vccnz .LBB34_22
; %bb.21:                               ;   in Loop: Header=BB34_4 Depth=1
	v_add_co_u32 v10, vcc_lo, s12, v35
	v_add_co_ci_u32_e64 v11, null, s13, v36, vcc_lo
	v_add_co_u32 v10, vcc_lo, 0x800, v10
	v_add_co_ci_u32_e64 v11, null, 0, v11, vcc_lo
	v_add_co_u32 v14, vcc_lo, s12, v27
	v_add_co_ci_u32_e64 v15, null, s13, v34, vcc_lo
	global_load_dwordx4 v[10:13], v[10:11], off
	v_add_co_u32 v14, vcc_lo, 0x800, v14
	v_add_co_ci_u32_e64 v15, null, 0, v15, vcc_lo
	v_add_co_u32 v41, vcc_lo, s12, v25
	v_add_co_ci_u32_e64 v42, null, s13, v31, vcc_lo
	global_load_dwordx4 v[14:17], v[14:15], off
	v_add_co_u32 v41, vcc_lo, 0x800, v41
	v_add_co_ci_u32_e64 v42, null, 0, v42, vcc_lo
	v_add_co_u32 v45, vcc_lo, s12, v1
	v_add_co_ci_u32_e64 v46, null, s13, v30, vcc_lo
	global_load_dwordx4 v[41:44], v[41:42], off
	v_add_co_u32 v45, vcc_lo, 0x800, v45
	v_add_co_ci_u32_e64 v46, null, 0, v46, vcc_lo
	global_load_dwordx4 v[45:48], v[45:46], off
	s_waitcnt vmcnt(3)
	v_cmp_neq_f64_e32 vcc_lo, 0, v[10:11]
	v_cmp_neq_f64_e64 s4, 0, v[12:13]
	v_add_co_u32 v10, s7, v6, 1
	v_add_co_ci_u32_e64 v11, null, 0, v7, s7
	s_waitcnt vmcnt(2)
	v_cmp_neq_f64_e64 s5, 0, v[14:15]
	v_cmp_neq_f64_e64 s6, 0, v[16:17]
	s_or_b32 vcc_lo, vcc_lo, s4
	s_waitcnt vmcnt(1)
	v_cmp_neq_f64_e64 s4, 0, v[43:44]
	v_cndmask_b32_e32 v7, v7, v11, vcc_lo
	v_cndmask_b32_e32 v6, v6, v10, vcc_lo
	v_cmp_neq_f64_e32 vcc_lo, 0, v[41:42]
	v_add_co_u32 v10, s7, v6, 1
	v_add_co_ci_u32_e64 v11, null, 0, v7, s7
	s_or_b32 s5, s5, s6
	s_waitcnt vmcnt(0)
	v_cmp_neq_f64_e64 s6, 0, v[47:48]
	v_cndmask_b32_e64 v6, v6, v10, s5
	v_cndmask_b32_e64 v7, v7, v11, s5
	v_cmp_neq_f64_e64 s5, 0, v[45:46]
	v_add_co_u32 v10, s7, v6, 1
	v_add_co_ci_u32_e64 v11, null, 0, v7, s7
	s_or_b32 vcc_lo, vcc_lo, s4
	v_cndmask_b32_e32 v6, v6, v10, vcc_lo
	v_cndmask_b32_e32 v7, v7, v11, vcc_lo
	v_add_co_u32 v10, vcc_lo, v6, 1
	v_add_co_ci_u32_e64 v11, null, 0, v7, vcc_lo
	s_or_b32 vcc_lo, s5, s6
	v_cndmask_b32_e32 v7, v7, v11, vcc_lo
	v_cndmask_b32_e32 v6, v6, v10, vcc_lo
	v_mov_b32_e32 v17, v9
	v_mov_b32_e32 v16, v8
	;; [unrolled: 1-line block ×8, first 2 shown]
.LBB34_22:                              ;   in Loop: Header=BB34_4 Depth=1
	v_mov_b32_e32 v2, v10
	v_mov_b32_e32 v3, v11
	;; [unrolled: 1-line block ×8, first 2 shown]
	s_or_b32 exec_lo, exec_lo, s29
	s_and_saveexec_b32 s29, s3
	s_cbranch_execz .LBB34_3
.LBB34_23:                              ;   in Loop: Header=BB34_4 Depth=1
	s_andn2_b32 vcc_lo, exec_lo, s28
	s_mov_b32 s4, -1
                                        ; implicit-def: $vgpr10_vgpr11_vgpr12_vgpr13_vgpr14_vgpr15_vgpr16_vgpr17
	s_cbranch_vccnz .LBB34_25
; %bb.24:                               ;   in Loop: Header=BB34_4 Depth=1
	v_add_co_u32 v45, vcc_lo, s12, v39
	v_add_co_ci_u32_e64 v46, null, s13, v40, vcc_lo
	s_clause 0x3
	global_load_dwordx4 v[10:13], v[45:46], off
	global_load_dwordx4 v[14:17], v[45:46], off offset:16
	global_load_dwordx4 v[41:44], v[45:46], off offset:32
	;; [unrolled: 1-line block ×3, first 2 shown]
	s_waitcnt vmcnt(3)
	v_cmp_neq_f64_e32 vcc_lo, 0, v[10:11]
	v_cmp_neq_f64_e64 s4, 0, v[12:13]
	s_waitcnt vmcnt(2)
	v_cmp_neq_f64_e64 s5, 0, v[14:15]
	v_cmp_neq_f64_e64 s6, 0, v[16:17]
	v_add_co_u32 v10, s7, v8, 1
	v_add_co_ci_u32_e64 v11, null, 0, v9, s7
	v_mov_b32_e32 v14, v6
	s_or_b32 vcc_lo, vcc_lo, s4
	s_waitcnt vmcnt(1)
	v_cmp_neq_f64_e64 s4, 0, v[43:44]
	v_cndmask_b32_e32 v11, v9, v11, vcc_lo
	v_cndmask_b32_e32 v10, v8, v10, vcc_lo
	v_cmp_neq_f64_e32 vcc_lo, 0, v[41:42]
	s_or_b32 s5, s5, s6
	s_waitcnt vmcnt(0)
	v_cmp_neq_f64_e64 s6, 0, v[47:48]
	v_add_co_u32 v12, s7, v10, 1
	v_add_co_ci_u32_e64 v13, null, 0, v11, s7
	v_cndmask_b32_e64 v10, v10, v12, s5
	v_cndmask_b32_e64 v11, v11, v13, s5
	v_cmp_neq_f64_e64 s5, 0, v[45:46]
	v_add_co_u32 v12, s7, v10, 1
	v_add_co_ci_u32_e64 v13, null, 0, v11, s7
	s_or_b32 vcc_lo, vcc_lo, s4
	s_mov_b32 s4, 0
	v_cndmask_b32_e32 v16, v10, v12, vcc_lo
	v_cndmask_b32_e32 v15, v11, v13, vcc_lo
	v_mov_b32_e32 v10, v2
	v_mov_b32_e32 v11, v3
	v_mov_b32_e32 v12, v4
	v_add_co_u32 v41, vcc_lo, v16, 1
	v_add_co_ci_u32_e64 v17, null, 0, v15, vcc_lo
	v_mov_b32_e32 v13, v5
	s_or_b32 vcc_lo, s5, s6
	v_cndmask_b32_e32 v17, v15, v17, vcc_lo
	v_cndmask_b32_e32 v16, v16, v41, vcc_lo
	v_mov_b32_e32 v15, v7
.LBB34_25:                              ;   in Loop: Header=BB34_4 Depth=1
	s_andn2_b32 vcc_lo, exec_lo, s4
	s_cbranch_vccnz .LBB34_2
; %bb.26:                               ;   in Loop: Header=BB34_4 Depth=1
	v_add_co_u32 v10, vcc_lo, s12, v35
	v_add_co_ci_u32_e64 v11, null, s13, v36, vcc_lo
	v_add_co_u32 v10, vcc_lo, 0x800, v10
	v_add_co_ci_u32_e64 v11, null, 0, v11, vcc_lo
	;; [unrolled: 2-line block ×3, first 2 shown]
	global_load_dwordx4 v[10:13], v[10:11], off offset:1024
	v_add_co_u32 v14, vcc_lo, 0x800, v14
	v_add_co_ci_u32_e64 v15, null, 0, v15, vcc_lo
	v_add_co_u32 v41, vcc_lo, s12, v25
	v_add_co_ci_u32_e64 v42, null, s13, v31, vcc_lo
	global_load_dwordx4 v[14:17], v[14:15], off offset:1024
	v_add_co_u32 v41, vcc_lo, 0x800, v41
	v_add_co_ci_u32_e64 v42, null, 0, v42, vcc_lo
	v_add_co_u32 v45, vcc_lo, s12, v1
	v_add_co_ci_u32_e64 v46, null, s13, v30, vcc_lo
	global_load_dwordx4 v[41:44], v[41:42], off offset:1024
	v_add_co_u32 v45, vcc_lo, 0x800, v45
	v_add_co_ci_u32_e64 v46, null, 0, v46, vcc_lo
	global_load_dwordx4 v[45:48], v[45:46], off offset:1024
	s_waitcnt vmcnt(3)
	v_cmp_neq_f64_e32 vcc_lo, 0, v[10:11]
	v_cmp_neq_f64_e64 s4, 0, v[12:13]
	v_add_co_u32 v10, s7, v8, 1
	v_add_co_ci_u32_e64 v11, null, 0, v9, s7
	s_waitcnt vmcnt(2)
	v_cmp_neq_f64_e64 s5, 0, v[14:15]
	v_cmp_neq_f64_e64 s6, 0, v[16:17]
	s_or_b32 vcc_lo, vcc_lo, s4
	s_waitcnt vmcnt(1)
	v_cmp_neq_f64_e64 s4, 0, v[43:44]
	v_cndmask_b32_e32 v9, v9, v11, vcc_lo
	v_cndmask_b32_e32 v8, v8, v10, vcc_lo
	v_cmp_neq_f64_e32 vcc_lo, 0, v[41:42]
	v_add_co_u32 v10, s7, v8, 1
	v_add_co_ci_u32_e64 v11, null, 0, v9, s7
	s_or_b32 s5, s5, s6
	s_waitcnt vmcnt(0)
	v_cmp_neq_f64_e64 s6, 0, v[47:48]
	v_cndmask_b32_e64 v8, v8, v10, s5
	v_cndmask_b32_e64 v9, v9, v11, s5
	v_cmp_neq_f64_e64 s5, 0, v[45:46]
	v_add_co_u32 v10, s7, v8, 1
	v_add_co_ci_u32_e64 v11, null, 0, v9, s7
	s_or_b32 vcc_lo, vcc_lo, s4
	v_cndmask_b32_e32 v8, v8, v10, vcc_lo
	v_cndmask_b32_e32 v9, v9, v11, vcc_lo
	v_add_co_u32 v10, vcc_lo, v8, 1
	v_add_co_ci_u32_e64 v11, null, 0, v9, vcc_lo
	s_or_b32 vcc_lo, s5, s6
	v_cndmask_b32_e32 v9, v9, v11, vcc_lo
	v_cndmask_b32_e32 v8, v8, v10, vcc_lo
	v_mov_b32_e32 v17, v9
	v_mov_b32_e32 v16, v8
	;; [unrolled: 1-line block ×8, first 2 shown]
	s_branch .LBB34_2
.LBB34_27:
	s_or_b32 exec_lo, exec_lo, s27
.LBB34_28:
	s_or_b32 exec_lo, exec_lo, s26
	v_cmp_lt_i64_e64 s0, s[18:19], 1
	s_and_b32 vcc_lo, exec_lo, s0
	s_cbranch_vccnz .LBB34_126
; %bb.29:
	v_lshlrev_b64 v[10:11], 4, v[18:19]
	s_cmp_eq_u32 s25, 1
	v_lshlrev_b64 v[26:27], 4, v[20:21]
	s_cselect_b32 s2, -1, 0
	s_cmp_lg_u32 s25, 1
	s_mov_b32 s3, exec_lo
	v_add_co_u32 v34, s0, s12, v10
	v_add_co_ci_u32_e64 v35, null, s13, v11, s0
	s_cselect_b32 s1, -1, 0
	v_cmpx_gt_i64_e64 s[8:9], v[20:21]
	s_cbranch_execz .LBB34_53
; %bb.30:
	v_mad_u64_u32 v[10:11], null, v20, s14, 0
	s_mov_b32 s4, exec_lo
	v_mov_b32_e32 v1, v11
	v_mad_u64_u32 v[11:12], null, v20, s15, v[1:2]
	v_lshlrev_b64 v[10:11], 4, v[10:11]
	v_add_co_u32 v28, s0, v34, v10
	v_add_co_ci_u32_e64 v29, null, v35, v11, s0
	v_add_co_u32 v1, s0, s12, v26
	v_add_co_ci_u32_e64 v20, null, s13, v27, s0
	v_cmpx_gt_i64_e64 s[10:11], v[18:19]
	s_cbranch_execz .LBB34_34
; %bb.31:
	v_mov_b32_e32 v10, v28
	v_mov_b32_e32 v11, v29
	s_andn2_b32 vcc_lo, exec_lo, s2
	s_cbranch_vccnz .LBB34_33
; %bb.32:
	v_mul_lo_u32 v12, v19, s14
	v_mul_lo_u32 v13, v18, s15
	v_mad_u64_u32 v[10:11], null, v18, s14, 0
	v_add3_u32 v11, v11, v13, v12
	v_lshlrev_b64 v[10:11], 4, v[10:11]
	v_add_co_u32 v10, vcc_lo, v1, v10
	v_add_co_ci_u32_e64 v11, null, v20, v11, vcc_lo
.LBB34_33:
	global_load_dwordx4 v[10:13], v[10:11], off
	s_waitcnt vmcnt(0)
	v_cmp_neq_f64_e32 vcc_lo, 0, v[10:11]
	v_cmp_neq_f64_e64 s0, 0, v[12:13]
	s_or_b32 s0, vcc_lo, s0
	v_cndmask_b32_e64 v10, 0, 1, s0
	v_add_co_u32 v2, vcc_lo, v2, v10
	v_add_co_ci_u32_e64 v3, null, 0, v3, vcc_lo
.LBB34_34:
	s_or_b32 exec_lo, exec_lo, s4
	v_or_b32_e32 v30, 1, v18
	v_mov_b32_e32 v31, v19
	s_mov_b32 s4, exec_lo
	v_cmpx_gt_i64_e64 s[10:11], v[30:31]
	s_cbranch_execz .LBB34_40
; %bb.35:
	s_andn2_b32 vcc_lo, exec_lo, s1
	s_cbranch_vccnz .LBB34_37
; %bb.36:
	global_load_dwordx4 v[10:13], v[28:29], off offset:16
	s_waitcnt vmcnt(0)
	v_cmp_neq_f64_e32 vcc_lo, 0, v[10:11]
	v_cmp_neq_f64_e64 s0, 0, v[12:13]
	s_or_b32 s0, vcc_lo, s0
	v_cndmask_b32_e64 v10, 0, 1, s0
	v_add_co_u32 v23, vcc_lo, v2, v10
	v_add_co_ci_u32_e64 v25, null, 0, v3, vcc_lo
	v_mov_b32_e32 v17, v9
	v_mov_b32_e32 v11, v3
	;; [unrolled: 1-line block ×10, first 2 shown]
	s_cbranch_execz .LBB34_38
	s_branch .LBB34_39
.LBB34_37:
                                        ; implicit-def: $vgpr10_vgpr11_vgpr12_vgpr13_vgpr14_vgpr15_vgpr16_vgpr17
.LBB34_38:
	v_mul_lo_u32 v12, v31, s14
	v_mul_lo_u32 v13, v30, s15
	v_mad_u64_u32 v[10:11], null, v30, s14, 0
	v_add3_u32 v11, v11, v13, v12
	v_lshlrev_b64 v[10:11], 4, v[10:11]
	v_add_co_u32 v10, vcc_lo, v1, v10
	v_add_co_ci_u32_e64 v11, null, v20, v11, vcc_lo
	global_load_dwordx4 v[10:13], v[10:11], off
	s_waitcnt vmcnt(0)
	v_cmp_neq_f64_e32 vcc_lo, 0, v[10:11]
	v_cmp_neq_f64_e64 s0, 0, v[12:13]
	s_or_b32 s0, vcc_lo, s0
	v_cndmask_b32_e64 v10, 0, 1, s0
	v_add_co_u32 v2, vcc_lo, v2, v10
	v_add_co_ci_u32_e64 v3, null, 0, v3, vcc_lo
	v_mov_b32_e32 v17, v9
	v_mov_b32_e32 v16, v8
	;; [unrolled: 1-line block ×8, first 2 shown]
.LBB34_39:
	v_mov_b32_e32 v2, v10
	v_mov_b32_e32 v3, v11
	v_mov_b32_e32 v4, v12
	v_mov_b32_e32 v5, v13
	v_mov_b32_e32 v6, v14
	v_mov_b32_e32 v7, v15
	v_mov_b32_e32 v8, v16
	v_mov_b32_e32 v9, v17
.LBB34_40:
	s_or_b32 exec_lo, exec_lo, s4
	v_or_b32_e32 v30, 2, v18
	v_mov_b32_e32 v31, v19
	s_mov_b32 s4, exec_lo
	v_cmpx_gt_i64_e64 s[10:11], v[30:31]
	s_cbranch_execz .LBB34_46
; %bb.41:
	s_andn2_b32 vcc_lo, exec_lo, s1
	s_cbranch_vccnz .LBB34_43
; %bb.42:
	global_load_dwordx4 v[10:13], v[28:29], off offset:32
	s_waitcnt vmcnt(0)
	v_cmp_neq_f64_e32 vcc_lo, 0, v[10:11]
	v_cmp_neq_f64_e64 s0, 0, v[12:13]
	s_or_b32 s0, vcc_lo, s0
	v_cndmask_b32_e64 v10, 0, 1, s0
	v_add_co_u32 v23, vcc_lo, v2, v10
	v_add_co_ci_u32_e64 v25, null, 0, v3, vcc_lo
	v_mov_b32_e32 v17, v9
	v_mov_b32_e32 v11, v3
	;; [unrolled: 1-line block ×10, first 2 shown]
	s_cbranch_execz .LBB34_44
	s_branch .LBB34_45
.LBB34_43:
                                        ; implicit-def: $vgpr10_vgpr11_vgpr12_vgpr13_vgpr14_vgpr15_vgpr16_vgpr17
.LBB34_44:
	v_mul_lo_u32 v12, v31, s14
	v_mul_lo_u32 v13, v30, s15
	v_mad_u64_u32 v[10:11], null, v30, s14, 0
	v_add3_u32 v11, v11, v13, v12
	v_lshlrev_b64 v[10:11], 4, v[10:11]
	v_add_co_u32 v10, vcc_lo, v1, v10
	v_add_co_ci_u32_e64 v11, null, v20, v11, vcc_lo
	global_load_dwordx4 v[10:13], v[10:11], off
	s_waitcnt vmcnt(0)
	v_cmp_neq_f64_e32 vcc_lo, 0, v[10:11]
	v_cmp_neq_f64_e64 s0, 0, v[12:13]
	s_or_b32 s0, vcc_lo, s0
	v_cndmask_b32_e64 v10, 0, 1, s0
	v_add_co_u32 v2, vcc_lo, v2, v10
	v_add_co_ci_u32_e64 v3, null, 0, v3, vcc_lo
	v_mov_b32_e32 v17, v9
	v_mov_b32_e32 v16, v8
	;; [unrolled: 1-line block ×8, first 2 shown]
.LBB34_45:
	v_mov_b32_e32 v2, v10
	v_mov_b32_e32 v3, v11
	;; [unrolled: 1-line block ×8, first 2 shown]
.LBB34_46:
	s_or_b32 exec_lo, exec_lo, s4
	v_or_b32_e32 v30, 3, v18
	v_mov_b32_e32 v31, v19
	s_mov_b32 s4, exec_lo
	v_cmpx_gt_i64_e64 s[10:11], v[30:31]
	s_cbranch_execz .LBB34_52
; %bb.47:
	s_andn2_b32 vcc_lo, exec_lo, s1
	s_cbranch_vccnz .LBB34_49
; %bb.48:
	global_load_dwordx4 v[10:13], v[28:29], off offset:48
	s_waitcnt vmcnt(0)
	v_cmp_neq_f64_e32 vcc_lo, 0, v[10:11]
	v_cmp_neq_f64_e64 s0, 0, v[12:13]
	s_or_b32 s0, vcc_lo, s0
	v_cndmask_b32_e64 v10, 0, 1, s0
	v_add_co_u32 v23, vcc_lo, v2, v10
	v_add_co_ci_u32_e64 v25, null, 0, v3, vcc_lo
	v_mov_b32_e32 v17, v9
	v_mov_b32_e32 v11, v3
	;; [unrolled: 1-line block ×10, first 2 shown]
	s_cbranch_execz .LBB34_50
	s_branch .LBB34_51
.LBB34_49:
                                        ; implicit-def: $vgpr10_vgpr11_vgpr12_vgpr13_vgpr14_vgpr15_vgpr16_vgpr17
.LBB34_50:
	v_mul_lo_u32 v12, v31, s14
	v_mul_lo_u32 v13, v30, s15
	v_mad_u64_u32 v[10:11], null, v30, s14, 0
	v_add3_u32 v11, v11, v13, v12
	v_lshlrev_b64 v[10:11], 4, v[10:11]
	v_add_co_u32 v10, vcc_lo, v1, v10
	v_add_co_ci_u32_e64 v11, null, v20, v11, vcc_lo
	global_load_dwordx4 v[10:13], v[10:11], off
	s_waitcnt vmcnt(0)
	v_cmp_neq_f64_e32 vcc_lo, 0, v[10:11]
	v_cmp_neq_f64_e64 s0, 0, v[12:13]
	s_or_b32 s0, vcc_lo, s0
	v_cndmask_b32_e64 v1, 0, 1, s0
	v_add_co_u32 v2, vcc_lo, v2, v1
	v_add_co_ci_u32_e64 v3, null, 0, v3, vcc_lo
	v_mov_b32_e32 v17, v9
	v_mov_b32_e32 v16, v8
	v_mov_b32_e32 v15, v7
	v_mov_b32_e32 v14, v6
	v_mov_b32_e32 v13, v5
	v_mov_b32_e32 v12, v4
	v_mov_b32_e32 v11, v3
	v_mov_b32_e32 v10, v2
.LBB34_51:
	v_mov_b32_e32 v2, v10
	v_mov_b32_e32 v3, v11
	;; [unrolled: 1-line block ×8, first 2 shown]
.LBB34_52:
	s_or_b32 exec_lo, exec_lo, s4
.LBB34_53:
	s_or_b32 exec_lo, exec_lo, s3
	v_mov_b32_e32 v25, v21
	s_mov_b32 s3, exec_lo
	v_cmpx_gt_i64_e64 s[8:9], v[24:25]
	s_cbranch_execz .LBB34_77
; %bb.54:
	v_mad_u64_u32 v[10:11], null, v24, s14, 0
	s_mov_b32 s4, exec_lo
	v_mov_b32_e32 v1, v11
	v_mad_u64_u32 v[11:12], null, v24, s15, v[1:2]
	v_lshlrev_b64 v[10:11], 4, v[10:11]
	v_add_co_u32 v23, s0, v34, v10
	v_add_co_ci_u32_e64 v24, null, v35, v11, s0
	v_add_co_u32 v1, s0, s12, v26
	v_add_co_ci_u32_e64 v20, null, s13, v27, s0
	v_cmpx_gt_i64_e64 s[10:11], v[18:19]
	s_cbranch_execz .LBB34_58
; %bb.55:
	v_mov_b32_e32 v10, v23
	v_mov_b32_e32 v11, v24
	s_andn2_b32 vcc_lo, exec_lo, s2
	s_cbranch_vccnz .LBB34_57
; %bb.56:
	v_mul_lo_u32 v12, v19, s14
	v_mul_lo_u32 v13, v18, s15
	v_mad_u64_u32 v[10:11], null, v18, s14, 0
	v_add3_u32 v11, v11, v13, v12
	v_lshlrev_b64 v[10:11], 4, v[10:11]
	v_add_co_u32 v10, vcc_lo, v1, v10
	v_add_co_ci_u32_e64 v11, null, v20, v11, vcc_lo
	v_add_co_u32 v10, vcc_lo, 0x400, v10
	v_add_co_ci_u32_e64 v11, null, 0, v11, vcc_lo
.LBB34_57:
	global_load_dwordx4 v[10:13], v[10:11], off
	s_waitcnt vmcnt(0)
	v_cmp_neq_f64_e32 vcc_lo, 0, v[10:11]
	v_cmp_neq_f64_e64 s0, 0, v[12:13]
	s_or_b32 s0, vcc_lo, s0
	v_cndmask_b32_e64 v10, 0, 1, s0
	v_add_co_u32 v4, vcc_lo, v4, v10
	v_add_co_ci_u32_e64 v5, null, 0, v5, vcc_lo
.LBB34_58:
	s_or_b32 exec_lo, exec_lo, s4
	v_or_b32_e32 v25, 1, v18
	v_mov_b32_e32 v26, v19
	s_mov_b32 s4, exec_lo
	v_cmpx_gt_i64_e64 s[10:11], v[25:26]
	s_cbranch_execz .LBB34_64
; %bb.59:
	s_andn2_b32 vcc_lo, exec_lo, s1
	s_cbranch_vccnz .LBB34_61
; %bb.60:
	global_load_dwordx4 v[10:13], v[23:24], off offset:16
	s_waitcnt vmcnt(0)
	v_cmp_neq_f64_e32 vcc_lo, 0, v[10:11]
	v_cmp_neq_f64_e64 s0, 0, v[12:13]
	s_or_b32 s0, vcc_lo, s0
	v_cndmask_b32_e64 v10, 0, 1, s0
	v_add_co_u32 v27, vcc_lo, v4, v10
	v_add_co_ci_u32_e64 v28, null, 0, v5, vcc_lo
	v_mov_b32_e32 v17, v9
	v_mov_b32_e32 v13, v5
	;; [unrolled: 1-line block ×10, first 2 shown]
	s_cbranch_execz .LBB34_62
	s_branch .LBB34_63
.LBB34_61:
                                        ; implicit-def: $vgpr10_vgpr11_vgpr12_vgpr13_vgpr14_vgpr15_vgpr16_vgpr17
.LBB34_62:
	v_mul_lo_u32 v12, v26, s14
	v_mul_lo_u32 v13, v25, s15
	v_mad_u64_u32 v[10:11], null, v25, s14, 0
	v_add3_u32 v11, v11, v13, v12
	v_lshlrev_b64 v[10:11], 4, v[10:11]
	v_add_co_u32 v10, vcc_lo, v1, v10
	v_add_co_ci_u32_e64 v11, null, v20, v11, vcc_lo
	global_load_dwordx4 v[10:13], v[10:11], off offset:1024
	s_waitcnt vmcnt(0)
	v_cmp_neq_f64_e32 vcc_lo, 0, v[10:11]
	v_cmp_neq_f64_e64 s0, 0, v[12:13]
	s_or_b32 s0, vcc_lo, s0
	v_cndmask_b32_e64 v10, 0, 1, s0
	v_add_co_u32 v4, vcc_lo, v4, v10
	v_add_co_ci_u32_e64 v5, null, 0, v5, vcc_lo
	v_mov_b32_e32 v17, v9
	v_mov_b32_e32 v16, v8
	;; [unrolled: 1-line block ×8, first 2 shown]
.LBB34_63:
	v_mov_b32_e32 v2, v10
	v_mov_b32_e32 v3, v11
	;; [unrolled: 1-line block ×8, first 2 shown]
.LBB34_64:
	s_or_b32 exec_lo, exec_lo, s4
	v_or_b32_e32 v25, 2, v18
	v_mov_b32_e32 v26, v19
	s_mov_b32 s4, exec_lo
	v_cmpx_gt_i64_e64 s[10:11], v[25:26]
	s_cbranch_execz .LBB34_70
; %bb.65:
	s_andn2_b32 vcc_lo, exec_lo, s1
	s_cbranch_vccnz .LBB34_67
; %bb.66:
	global_load_dwordx4 v[10:13], v[23:24], off offset:32
	s_waitcnt vmcnt(0)
	v_cmp_neq_f64_e32 vcc_lo, 0, v[10:11]
	v_cmp_neq_f64_e64 s0, 0, v[12:13]
	s_or_b32 s0, vcc_lo, s0
	v_cndmask_b32_e64 v10, 0, 1, s0
	v_add_co_u32 v27, vcc_lo, v4, v10
	v_add_co_ci_u32_e64 v28, null, 0, v5, vcc_lo
	v_mov_b32_e32 v17, v9
	v_mov_b32_e32 v13, v5
	v_mov_b32_e32 v12, v4
	v_mov_b32_e32 v16, v8
	v_mov_b32_e32 v15, v7
	v_mov_b32_e32 v14, v6
	v_mov_b32_e32 v11, v3
	v_mov_b32_e32 v10, v2
	v_mov_b32_e32 v12, v27
	v_mov_b32_e32 v13, v28
	s_cbranch_execz .LBB34_68
	s_branch .LBB34_69
.LBB34_67:
                                        ; implicit-def: $vgpr10_vgpr11_vgpr12_vgpr13_vgpr14_vgpr15_vgpr16_vgpr17
.LBB34_68:
	v_mul_lo_u32 v12, v26, s14
	v_mul_lo_u32 v13, v25, s15
	v_mad_u64_u32 v[10:11], null, v25, s14, 0
	v_add3_u32 v11, v11, v13, v12
	v_lshlrev_b64 v[10:11], 4, v[10:11]
	v_add_co_u32 v10, vcc_lo, v1, v10
	v_add_co_ci_u32_e64 v11, null, v20, v11, vcc_lo
	global_load_dwordx4 v[10:13], v[10:11], off offset:1024
	s_waitcnt vmcnt(0)
	v_cmp_neq_f64_e32 vcc_lo, 0, v[10:11]
	v_cmp_neq_f64_e64 s0, 0, v[12:13]
	s_or_b32 s0, vcc_lo, s0
	v_cndmask_b32_e64 v10, 0, 1, s0
	v_add_co_u32 v4, vcc_lo, v4, v10
	v_add_co_ci_u32_e64 v5, null, 0, v5, vcc_lo
	v_mov_b32_e32 v17, v9
	v_mov_b32_e32 v16, v8
	;; [unrolled: 1-line block ×8, first 2 shown]
.LBB34_69:
	v_mov_b32_e32 v2, v10
	v_mov_b32_e32 v3, v11
	v_mov_b32_e32 v4, v12
	v_mov_b32_e32 v5, v13
	v_mov_b32_e32 v6, v14
	v_mov_b32_e32 v7, v15
	v_mov_b32_e32 v8, v16
	v_mov_b32_e32 v9, v17
.LBB34_70:
	s_or_b32 exec_lo, exec_lo, s4
	v_or_b32_e32 v25, 3, v18
	v_mov_b32_e32 v26, v19
	s_mov_b32 s4, exec_lo
	v_cmpx_gt_i64_e64 s[10:11], v[25:26]
	s_cbranch_execz .LBB34_76
; %bb.71:
	s_andn2_b32 vcc_lo, exec_lo, s1
	s_cbranch_vccnz .LBB34_73
; %bb.72:
	global_load_dwordx4 v[10:13], v[23:24], off offset:48
	s_waitcnt vmcnt(0)
	v_cmp_neq_f64_e32 vcc_lo, 0, v[10:11]
	v_cmp_neq_f64_e64 s0, 0, v[12:13]
	s_or_b32 s0, vcc_lo, s0
	v_cndmask_b32_e64 v10, 0, 1, s0
	v_add_co_u32 v23, vcc_lo, v4, v10
	v_add_co_ci_u32_e64 v24, null, 0, v5, vcc_lo
	v_mov_b32_e32 v17, v9
	v_mov_b32_e32 v13, v5
	;; [unrolled: 1-line block ×10, first 2 shown]
	s_cbranch_execz .LBB34_74
	s_branch .LBB34_75
.LBB34_73:
                                        ; implicit-def: $vgpr10_vgpr11_vgpr12_vgpr13_vgpr14_vgpr15_vgpr16_vgpr17
.LBB34_74:
	v_mul_lo_u32 v12, v26, s14
	v_mul_lo_u32 v13, v25, s15
	v_mad_u64_u32 v[10:11], null, v25, s14, 0
	v_add3_u32 v11, v11, v13, v12
	v_lshlrev_b64 v[10:11], 4, v[10:11]
	v_add_co_u32 v10, vcc_lo, v1, v10
	v_add_co_ci_u32_e64 v11, null, v20, v11, vcc_lo
	global_load_dwordx4 v[10:13], v[10:11], off offset:1024
	s_waitcnt vmcnt(0)
	v_cmp_neq_f64_e32 vcc_lo, 0, v[10:11]
	v_cmp_neq_f64_e64 s0, 0, v[12:13]
	s_or_b32 s0, vcc_lo, s0
	v_cndmask_b32_e64 v1, 0, 1, s0
	v_add_co_u32 v4, vcc_lo, v4, v1
	v_add_co_ci_u32_e64 v5, null, 0, v5, vcc_lo
	v_mov_b32_e32 v17, v9
	v_mov_b32_e32 v16, v8
	;; [unrolled: 1-line block ×8, first 2 shown]
.LBB34_75:
	v_mov_b32_e32 v2, v10
	v_mov_b32_e32 v3, v11
	;; [unrolled: 1-line block ×8, first 2 shown]
.LBB34_76:
	s_or_b32 exec_lo, exec_lo, s4
.LBB34_77:
	s_or_b32 exec_lo, exec_lo, s3
	v_mov_b32_e32 v23, v21
	s_mov_b32 s3, exec_lo
	v_cmpx_gt_i64_e64 s[8:9], v[22:23]
	s_cbranch_execz .LBB34_101
; %bb.78:
	v_mad_u64_u32 v[10:11], null, v22, s14, 0
	s_mov_b32 s4, exec_lo
	v_mov_b32_e32 v1, v11
	v_mad_u64_u32 v[11:12], null, v22, s15, v[1:2]
	v_lshlrev_b64 v[12:13], 4, v[22:23]
	v_lshlrev_b64 v[10:11], 4, v[10:11]
	v_add_co_u32 v22, s0, v34, v10
	v_add_co_ci_u32_e64 v23, null, v35, v11, s0
	v_add_co_u32 v1, s0, s12, v12
	v_add_co_ci_u32_e64 v20, null, s13, v13, s0
	v_cmpx_gt_i64_e64 s[10:11], v[18:19]
	s_cbranch_execz .LBB34_82
; %bb.79:
	v_mov_b32_e32 v10, v22
	v_mov_b32_e32 v11, v23
	s_andn2_b32 vcc_lo, exec_lo, s2
	s_cbranch_vccnz .LBB34_81
; %bb.80:
	v_mul_lo_u32 v12, v19, s14
	v_mul_lo_u32 v13, v18, s15
	v_mad_u64_u32 v[10:11], null, v18, s14, 0
	v_add3_u32 v11, v11, v13, v12
	v_lshlrev_b64 v[10:11], 4, v[10:11]
	v_add_co_u32 v10, vcc_lo, v1, v10
	v_add_co_ci_u32_e64 v11, null, v20, v11, vcc_lo
.LBB34_81:
	global_load_dwordx4 v[10:13], v[10:11], off
	s_waitcnt vmcnt(0)
	v_cmp_neq_f64_e32 vcc_lo, 0, v[10:11]
	v_cmp_neq_f64_e64 s0, 0, v[12:13]
	s_or_b32 s0, vcc_lo, s0
	v_cndmask_b32_e64 v10, 0, 1, s0
	v_add_co_u32 v6, vcc_lo, v6, v10
	v_add_co_ci_u32_e64 v7, null, 0, v7, vcc_lo
.LBB34_82:
	s_or_b32 exec_lo, exec_lo, s4
	v_or_b32_e32 v24, 1, v18
	v_mov_b32_e32 v25, v19
	s_mov_b32 s4, exec_lo
	v_cmpx_gt_i64_e64 s[10:11], v[24:25]
	s_cbranch_execz .LBB34_88
; %bb.83:
	s_andn2_b32 vcc_lo, exec_lo, s1
	s_cbranch_vccnz .LBB34_85
; %bb.84:
	global_load_dwordx4 v[10:13], v[22:23], off offset:16
	s_waitcnt vmcnt(0)
	v_cmp_neq_f64_e32 vcc_lo, 0, v[10:11]
	v_cmp_neq_f64_e64 s0, 0, v[12:13]
	s_or_b32 s0, vcc_lo, s0
	v_cndmask_b32_e64 v10, 0, 1, s0
	v_add_co_u32 v26, vcc_lo, v6, v10
	v_add_co_ci_u32_e64 v27, null, 0, v7, vcc_lo
	v_mov_b32_e32 v17, v9
	v_mov_b32_e32 v15, v7
	;; [unrolled: 1-line block ×10, first 2 shown]
	s_cbranch_execz .LBB34_86
	s_branch .LBB34_87
.LBB34_85:
                                        ; implicit-def: $vgpr10_vgpr11_vgpr12_vgpr13_vgpr14_vgpr15_vgpr16_vgpr17
.LBB34_86:
	v_mul_lo_u32 v12, v25, s14
	v_mul_lo_u32 v13, v24, s15
	v_mad_u64_u32 v[10:11], null, v24, s14, 0
	v_add3_u32 v11, v11, v13, v12
	v_lshlrev_b64 v[10:11], 4, v[10:11]
	v_add_co_u32 v10, vcc_lo, v1, v10
	v_add_co_ci_u32_e64 v11, null, v20, v11, vcc_lo
	global_load_dwordx4 v[10:13], v[10:11], off
	s_waitcnt vmcnt(0)
	v_cmp_neq_f64_e32 vcc_lo, 0, v[10:11]
	v_cmp_neq_f64_e64 s0, 0, v[12:13]
	s_or_b32 s0, vcc_lo, s0
	v_cndmask_b32_e64 v10, 0, 1, s0
	v_add_co_u32 v6, vcc_lo, v6, v10
	v_add_co_ci_u32_e64 v7, null, 0, v7, vcc_lo
	v_mov_b32_e32 v17, v9
	v_mov_b32_e32 v16, v8
	;; [unrolled: 1-line block ×8, first 2 shown]
.LBB34_87:
	v_mov_b32_e32 v2, v10
	v_mov_b32_e32 v3, v11
	;; [unrolled: 1-line block ×8, first 2 shown]
.LBB34_88:
	s_or_b32 exec_lo, exec_lo, s4
	v_or_b32_e32 v24, 2, v18
	v_mov_b32_e32 v25, v19
	s_mov_b32 s4, exec_lo
	v_cmpx_gt_i64_e64 s[10:11], v[24:25]
	s_cbranch_execz .LBB34_94
; %bb.89:
	s_andn2_b32 vcc_lo, exec_lo, s1
	s_cbranch_vccnz .LBB34_91
; %bb.90:
	global_load_dwordx4 v[10:13], v[22:23], off offset:32
	s_waitcnt vmcnt(0)
	v_cmp_neq_f64_e32 vcc_lo, 0, v[10:11]
	v_cmp_neq_f64_e64 s0, 0, v[12:13]
	s_or_b32 s0, vcc_lo, s0
	v_cndmask_b32_e64 v10, 0, 1, s0
	v_add_co_u32 v26, vcc_lo, v6, v10
	v_add_co_ci_u32_e64 v27, null, 0, v7, vcc_lo
	v_mov_b32_e32 v17, v9
	v_mov_b32_e32 v15, v7
	;; [unrolled: 1-line block ×10, first 2 shown]
	s_cbranch_execz .LBB34_92
	s_branch .LBB34_93
.LBB34_91:
                                        ; implicit-def: $vgpr10_vgpr11_vgpr12_vgpr13_vgpr14_vgpr15_vgpr16_vgpr17
.LBB34_92:
	v_mul_lo_u32 v12, v25, s14
	v_mul_lo_u32 v13, v24, s15
	v_mad_u64_u32 v[10:11], null, v24, s14, 0
	v_add3_u32 v11, v11, v13, v12
	v_lshlrev_b64 v[10:11], 4, v[10:11]
	v_add_co_u32 v10, vcc_lo, v1, v10
	v_add_co_ci_u32_e64 v11, null, v20, v11, vcc_lo
	global_load_dwordx4 v[10:13], v[10:11], off
	s_waitcnt vmcnt(0)
	v_cmp_neq_f64_e32 vcc_lo, 0, v[10:11]
	v_cmp_neq_f64_e64 s0, 0, v[12:13]
	s_or_b32 s0, vcc_lo, s0
	v_cndmask_b32_e64 v10, 0, 1, s0
	v_add_co_u32 v6, vcc_lo, v6, v10
	v_add_co_ci_u32_e64 v7, null, 0, v7, vcc_lo
	v_mov_b32_e32 v17, v9
	v_mov_b32_e32 v16, v8
	;; [unrolled: 1-line block ×8, first 2 shown]
.LBB34_93:
	v_mov_b32_e32 v2, v10
	v_mov_b32_e32 v3, v11
	;; [unrolled: 1-line block ×8, first 2 shown]
.LBB34_94:
	s_or_b32 exec_lo, exec_lo, s4
	v_or_b32_e32 v24, 3, v18
	v_mov_b32_e32 v25, v19
	s_mov_b32 s4, exec_lo
	v_cmpx_gt_i64_e64 s[10:11], v[24:25]
	s_cbranch_execz .LBB34_100
; %bb.95:
	s_andn2_b32 vcc_lo, exec_lo, s1
	s_cbranch_vccnz .LBB34_97
; %bb.96:
	global_load_dwordx4 v[10:13], v[22:23], off offset:48
	s_waitcnt vmcnt(0)
	v_cmp_neq_f64_e32 vcc_lo, 0, v[10:11]
	v_cmp_neq_f64_e64 s0, 0, v[12:13]
	s_or_b32 s0, vcc_lo, s0
	v_cndmask_b32_e64 v10, 0, 1, s0
	v_add_co_u32 v22, vcc_lo, v6, v10
	v_add_co_ci_u32_e64 v23, null, 0, v7, vcc_lo
	v_mov_b32_e32 v17, v9
	v_mov_b32_e32 v15, v7
	;; [unrolled: 1-line block ×10, first 2 shown]
	s_cbranch_execz .LBB34_98
	s_branch .LBB34_99
.LBB34_97:
                                        ; implicit-def: $vgpr10_vgpr11_vgpr12_vgpr13_vgpr14_vgpr15_vgpr16_vgpr17
.LBB34_98:
	v_mul_lo_u32 v12, v25, s14
	v_mul_lo_u32 v13, v24, s15
	v_mad_u64_u32 v[10:11], null, v24, s14, 0
	v_add3_u32 v11, v11, v13, v12
	v_lshlrev_b64 v[10:11], 4, v[10:11]
	v_add_co_u32 v10, vcc_lo, v1, v10
	v_add_co_ci_u32_e64 v11, null, v20, v11, vcc_lo
	global_load_dwordx4 v[10:13], v[10:11], off
	s_waitcnt vmcnt(0)
	v_cmp_neq_f64_e32 vcc_lo, 0, v[10:11]
	v_cmp_neq_f64_e64 s0, 0, v[12:13]
	s_or_b32 s0, vcc_lo, s0
	v_cndmask_b32_e64 v1, 0, 1, s0
	v_add_co_u32 v6, vcc_lo, v6, v1
	v_add_co_ci_u32_e64 v7, null, 0, v7, vcc_lo
	v_mov_b32_e32 v17, v9
	v_mov_b32_e32 v16, v8
	;; [unrolled: 1-line block ×8, first 2 shown]
.LBB34_99:
	v_mov_b32_e32 v2, v10
	v_mov_b32_e32 v3, v11
	;; [unrolled: 1-line block ×8, first 2 shown]
.LBB34_100:
	s_or_b32 exec_lo, exec_lo, s4
.LBB34_101:
	s_or_b32 exec_lo, exec_lo, s3
	v_mov_b32_e32 v1, v21
	s_mov_b32 s3, exec_lo
	v_cmpx_gt_i64_e64 s[8:9], v[0:1]
	s_cbranch_execz .LBB34_125
; %bb.102:
	v_mad_u64_u32 v[10:11], null, v0, s14, 0
	s_mov_b32 s4, exec_lo
	v_mad_u64_u32 v[11:12], null, v0, s15, v[11:12]
	v_lshlrev_b64 v[12:13], 4, v[0:1]
	v_lshlrev_b64 v[10:11], 4, v[10:11]
	v_add_co_u32 v0, s0, v34, v10
	v_add_co_ci_u32_e64 v1, null, v35, v11, s0
	v_add_co_u32 v22, s0, s12, v12
	v_add_co_ci_u32_e64 v23, null, s13, v13, s0
	v_cmpx_gt_i64_e64 s[10:11], v[18:19]
	s_cbranch_execz .LBB34_106
; %bb.103:
	v_mov_b32_e32 v11, v1
	v_mov_b32_e32 v10, v0
	s_andn2_b32 vcc_lo, exec_lo, s2
	s_cbranch_vccnz .LBB34_105
; %bb.104:
	v_mul_lo_u32 v12, v19, s14
	v_mul_lo_u32 v13, v18, s15
	v_mad_u64_u32 v[10:11], null, v18, s14, 0
	v_add3_u32 v11, v11, v13, v12
	v_lshlrev_b64 v[10:11], 4, v[10:11]
	v_add_co_u32 v10, vcc_lo, v22, v10
	v_add_co_ci_u32_e64 v11, null, v23, v11, vcc_lo
.LBB34_105:
	global_load_dwordx4 v[10:13], v[10:11], off
	s_waitcnt vmcnt(0)
	v_cmp_neq_f64_e32 vcc_lo, 0, v[10:11]
	v_cmp_neq_f64_e64 s0, 0, v[12:13]
	s_or_b32 s0, vcc_lo, s0
	v_cndmask_b32_e64 v10, 0, 1, s0
	v_add_co_u32 v8, vcc_lo, v8, v10
	v_add_co_ci_u32_e64 v9, null, 0, v9, vcc_lo
.LBB34_106:
	s_or_b32 exec_lo, exec_lo, s4
	v_or_b32_e32 v20, 1, v18
	v_mov_b32_e32 v21, v19
	v_cndmask_b32_e64 v24, 0, 1, s1
	s_mov_b32 s2, exec_lo
	v_cmpx_gt_i64_e64 s[10:11], v[20:21]
	s_cbranch_execz .LBB34_112
; %bb.107:
	s_andn2_b32 vcc_lo, exec_lo, s1
	s_cbranch_vccnz .LBB34_109
; %bb.108:
	global_load_dwordx4 v[10:13], v[0:1], off offset:16
	s_waitcnt vmcnt(0)
	v_cmp_neq_f64_e32 vcc_lo, 0, v[10:11]
	v_cmp_neq_f64_e64 s0, 0, v[12:13]
	s_or_b32 s0, vcc_lo, s0
	v_cndmask_b32_e64 v10, 0, 1, s0
	v_add_co_u32 v25, vcc_lo, v8, v10
	v_add_co_ci_u32_e64 v26, null, 0, v9, vcc_lo
	v_mov_b32_e32 v17, v9
	v_mov_b32_e32 v16, v8
	;; [unrolled: 1-line block ×10, first 2 shown]
	s_cbranch_execz .LBB34_110
	s_branch .LBB34_111
.LBB34_109:
                                        ; implicit-def: $vgpr10_vgpr11_vgpr12_vgpr13_vgpr14_vgpr15_vgpr16_vgpr17
.LBB34_110:
	v_mul_lo_u32 v12, v21, s14
	v_mul_lo_u32 v13, v20, s15
	v_mad_u64_u32 v[10:11], null, v20, s14, 0
	v_add3_u32 v11, v11, v13, v12
	v_lshlrev_b64 v[10:11], 4, v[10:11]
	v_add_co_u32 v10, vcc_lo, v22, v10
	v_add_co_ci_u32_e64 v11, null, v23, v11, vcc_lo
	global_load_dwordx4 v[10:13], v[10:11], off
	s_waitcnt vmcnt(0)
	v_cmp_neq_f64_e32 vcc_lo, 0, v[10:11]
	v_cmp_neq_f64_e64 s0, 0, v[12:13]
	s_or_b32 s0, vcc_lo, s0
	v_cndmask_b32_e64 v10, 0, 1, s0
	v_add_co_u32 v8, vcc_lo, v8, v10
	v_add_co_ci_u32_e64 v9, null, 0, v9, vcc_lo
	v_mov_b32_e32 v17, v9
	v_mov_b32_e32 v16, v8
	;; [unrolled: 1-line block ×8, first 2 shown]
.LBB34_111:
	v_mov_b32_e32 v2, v10
	v_mov_b32_e32 v3, v11
	;; [unrolled: 1-line block ×8, first 2 shown]
.LBB34_112:
	s_or_b32 exec_lo, exec_lo, s2
	v_or_b32_e32 v20, 2, v18
	v_mov_b32_e32 v21, v19
	s_mov_b32 s1, exec_lo
	v_cmpx_gt_i64_e64 s[10:11], v[20:21]
	s_cbranch_execz .LBB34_118
; %bb.113:
	v_cmp_ne_u32_e32 vcc_lo, 1, v24
	s_cbranch_vccnz .LBB34_115
; %bb.114:
	global_load_dwordx4 v[10:13], v[0:1], off offset:32
	s_waitcnt vmcnt(0)
	v_cmp_neq_f64_e32 vcc_lo, 0, v[10:11]
	v_cmp_neq_f64_e64 s0, 0, v[12:13]
	s_or_b32 s0, vcc_lo, s0
	v_cndmask_b32_e64 v10, 0, 1, s0
	v_add_co_u32 v25, vcc_lo, v8, v10
	v_add_co_ci_u32_e64 v26, null, 0, v9, vcc_lo
	v_mov_b32_e32 v17, v9
	v_mov_b32_e32 v16, v8
	;; [unrolled: 1-line block ×10, first 2 shown]
	s_cbranch_execz .LBB34_116
	s_branch .LBB34_117
.LBB34_115:
                                        ; implicit-def: $vgpr10_vgpr11_vgpr12_vgpr13_vgpr14_vgpr15_vgpr16_vgpr17
.LBB34_116:
	v_mul_lo_u32 v12, v21, s14
	v_mul_lo_u32 v13, v20, s15
	v_mad_u64_u32 v[10:11], null, v20, s14, 0
	v_add3_u32 v11, v11, v13, v12
	v_lshlrev_b64 v[10:11], 4, v[10:11]
	v_add_co_u32 v10, vcc_lo, v22, v10
	v_add_co_ci_u32_e64 v11, null, v23, v11, vcc_lo
	global_load_dwordx4 v[10:13], v[10:11], off
	s_waitcnt vmcnt(0)
	v_cmp_neq_f64_e32 vcc_lo, 0, v[10:11]
	v_cmp_neq_f64_e64 s0, 0, v[12:13]
	s_or_b32 s0, vcc_lo, s0
	v_cndmask_b32_e64 v10, 0, 1, s0
	v_add_co_u32 v8, vcc_lo, v8, v10
	v_add_co_ci_u32_e64 v9, null, 0, v9, vcc_lo
	v_mov_b32_e32 v17, v9
	v_mov_b32_e32 v16, v8
	;; [unrolled: 1-line block ×8, first 2 shown]
.LBB34_117:
	v_mov_b32_e32 v2, v10
	v_mov_b32_e32 v3, v11
	;; [unrolled: 1-line block ×8, first 2 shown]
.LBB34_118:
	s_or_b32 exec_lo, exec_lo, s1
	v_or_b32_e32 v18, 3, v18
	s_mov_b32 s1, exec_lo
	v_cmpx_gt_i64_e64 s[10:11], v[18:19]
	s_cbranch_execz .LBB34_124
; %bb.119:
	v_cmp_ne_u32_e32 vcc_lo, 1, v24
	s_cbranch_vccnz .LBB34_121
; %bb.120:
	global_load_dwordx4 v[10:13], v[0:1], off offset:48
	s_waitcnt vmcnt(0)
	v_cmp_neq_f64_e32 vcc_lo, 0, v[10:11]
	v_cmp_neq_f64_e64 s0, 0, v[12:13]
	v_mov_b32_e32 v17, v9
	v_mov_b32_e32 v16, v8
	v_mov_b32_e32 v15, v7
	v_mov_b32_e32 v14, v6
	v_mov_b32_e32 v13, v5
	v_mov_b32_e32 v12, v4
	v_mov_b32_e32 v11, v3
	v_mov_b32_e32 v10, v2
	s_or_b32 s0, vcc_lo, s0
	v_cndmask_b32_e64 v0, 0, 1, s0
	v_add_co_u32 v0, vcc_lo, v8, v0
	v_add_co_ci_u32_e64 v1, null, 0, v9, vcc_lo
	v_mov_b32_e32 v16, v0
	v_mov_b32_e32 v17, v1
	s_cbranch_execz .LBB34_122
	s_branch .LBB34_123
.LBB34_121:
                                        ; implicit-def: $vgpr10_vgpr11_vgpr12_vgpr13_vgpr14_vgpr15_vgpr16_vgpr17
.LBB34_122:
	v_mul_lo_u32 v10, v19, s14
	v_mul_lo_u32 v11, v18, s15
	v_mad_u64_u32 v[0:1], null, v18, s14, 0
	v_add3_u32 v1, v1, v11, v10
	v_lshlrev_b64 v[0:1], 4, v[0:1]
	v_add_co_u32 v0, vcc_lo, v22, v0
	v_add_co_ci_u32_e64 v1, null, v23, v1, vcc_lo
	global_load_dwordx4 v[10:13], v[0:1], off
	s_waitcnt vmcnt(0)
	v_cmp_neq_f64_e32 vcc_lo, 0, v[10:11]
	v_cmp_neq_f64_e64 s0, 0, v[12:13]
	s_or_b32 s0, vcc_lo, s0
	v_cndmask_b32_e64 v0, 0, 1, s0
	v_add_co_u32 v8, vcc_lo, v8, v0
	v_add_co_ci_u32_e64 v9, null, 0, v9, vcc_lo
	v_mov_b32_e32 v17, v9
	v_mov_b32_e32 v16, v8
	;; [unrolled: 1-line block ×8, first 2 shown]
.LBB34_123:
	v_mov_b32_e32 v2, v10
	v_mov_b32_e32 v3, v11
	;; [unrolled: 1-line block ×8, first 2 shown]
.LBB34_124:
	s_or_b32 exec_lo, exec_lo, s1
.LBB34_125:
	s_or_b32 exec_lo, exec_lo, s3
.LBB34_126:
	v_lshlrev_b32_e32 v0, 5, v32
	v_lshlrev_b32_e32 v1, 3, v33
	s_mov_b32 s0, exec_lo
	v_and_or_b32 v0, 0xfffff800, v0, v1
	ds_write2st64_b64 v0, v[2:3], v[4:5] offset1:1
	ds_write2st64_b64 v0, v[6:7], v[8:9] offset0:2 offset1:3
	s_waitcnt lgkmcnt(0)
	s_barrier
	buffer_gl0_inv
	v_cmpx_gt_u32_e32 0x100, v32
	s_cbranch_execz .LBB34_129
; %bb.127:
	v_lshlrev_b32_e32 v12, 3, v32
	ds_read2st64_b64 v[0:3], v12 offset1:4
	ds_read2st64_b64 v[4:7], v12 offset0:8 offset1:12
	ds_read2st64_b64 v[8:11], v12 offset0:16 offset1:20
	s_waitcnt lgkmcnt(2)
	v_add_co_u32 v13, vcc_lo, v0, v2
	v_add_co_ci_u32_e64 v14, null, v1, v3, vcc_lo
	ds_read2st64_b64 v[0:3], v12 offset0:24 offset1:28
	s_waitcnt lgkmcnt(2)
	v_add_co_u32 v4, vcc_lo, v13, v4
	v_add_co_ci_u32_e64 v5, null, v14, v5, vcc_lo
	v_add_co_u32 v13, vcc_lo, v4, v6
	v_add_co_ci_u32_e64 v14, null, v5, v7, vcc_lo
	ds_read2st64_b64 v[4:7], v12 offset0:32 offset1:36
	s_waitcnt lgkmcnt(2)
	v_add_co_u32 v8, vcc_lo, v13, v8
	v_add_co_ci_u32_e64 v9, null, v14, v9, vcc_lo
	;; [unrolled: 6-line block ×5, first 2 shown]
	v_add_co_u32 v8, vcc_lo, v8, v10
	v_add_co_ci_u32_e64 v9, null, v9, v11, vcc_lo
	s_waitcnt lgkmcnt(1)
	v_add_co_u32 v0, vcc_lo, v8, v0
	v_add_co_ci_u32_e64 v1, null, v9, v1, vcc_lo
	v_add_co_u32 v0, vcc_lo, v0, v2
	v_add_co_ci_u32_e64 v1, null, v1, v3, vcc_lo
	v_add_co_u32 v2, s0, v32, s24
	s_waitcnt lgkmcnt(0)
	v_add_co_u32 v0, vcc_lo, v0, v4
	v_add_co_ci_u32_e64 v1, null, v1, v5, vcc_lo
	v_add_co_ci_u32_e64 v3, null, 0, 0, s0
	v_add_co_u32 v0, vcc_lo, v0, v6
	v_add_co_ci_u32_e64 v1, null, v1, v7, vcc_lo
	v_cmp_gt_i64_e32 vcc_lo, s[8:9], v[2:3]
	ds_write_b64 v12, v[0:1]
	s_and_b32 exec_lo, exec_lo, vcc_lo
	s_cbranch_execz .LBB34_129
; %bb.128:
	v_lshlrev_b64 v[2:3], 3, v[2:3]
	v_add_co_u32 v2, vcc_lo, s16, v2
	v_add_co_ci_u32_e64 v3, null, s17, v3, vcc_lo
	global_store_dwordx2 v[2:3], v[0:1], off
.LBB34_129:
	s_endpgm
	.section	.rodata,"a",@progbits
	.p2align	6, 0x0
	.amdhsa_kernel _ZN9rocsparseL14nnz_kernel_rowILi64ELi16Ell21rocsparse_complex_numIdEEEv16rocsparse_order_T2_S4_PKT3_lPT1_
		.amdhsa_group_segment_fixed_size 32768
		.amdhsa_private_segment_fixed_size 0
		.amdhsa_kernarg_size 304
		.amdhsa_user_sgpr_count 6
		.amdhsa_user_sgpr_private_segment_buffer 1
		.amdhsa_user_sgpr_dispatch_ptr 0
		.amdhsa_user_sgpr_queue_ptr 0
		.amdhsa_user_sgpr_kernarg_segment_ptr 1
		.amdhsa_user_sgpr_dispatch_id 0
		.amdhsa_user_sgpr_flat_scratch_init 0
		.amdhsa_user_sgpr_private_segment_size 0
		.amdhsa_wavefront_size32 1
		.amdhsa_uses_dynamic_stack 0
		.amdhsa_system_sgpr_private_segment_wavefront_offset 0
		.amdhsa_system_sgpr_workgroup_id_x 1
		.amdhsa_system_sgpr_workgroup_id_y 0
		.amdhsa_system_sgpr_workgroup_id_z 0
		.amdhsa_system_sgpr_workgroup_info 0
		.amdhsa_system_vgpr_workitem_id 1
		.amdhsa_next_free_vgpr 49
		.amdhsa_next_free_sgpr 30
		.amdhsa_reserve_vcc 1
		.amdhsa_reserve_flat_scratch 0
		.amdhsa_float_round_mode_32 0
		.amdhsa_float_round_mode_16_64 0
		.amdhsa_float_denorm_mode_32 3
		.amdhsa_float_denorm_mode_16_64 3
		.amdhsa_dx10_clamp 1
		.amdhsa_ieee_mode 1
		.amdhsa_fp16_overflow 0
		.amdhsa_workgroup_processor_mode 1
		.amdhsa_memory_ordered 1
		.amdhsa_forward_progress 1
		.amdhsa_shared_vgpr_count 0
		.amdhsa_exception_fp_ieee_invalid_op 0
		.amdhsa_exception_fp_denorm_src 0
		.amdhsa_exception_fp_ieee_div_zero 0
		.amdhsa_exception_fp_ieee_overflow 0
		.amdhsa_exception_fp_ieee_underflow 0
		.amdhsa_exception_fp_ieee_inexact 0
		.amdhsa_exception_int_div_zero 0
	.end_amdhsa_kernel
	.section	.text._ZN9rocsparseL14nnz_kernel_rowILi64ELi16Ell21rocsparse_complex_numIdEEEv16rocsparse_order_T2_S4_PKT3_lPT1_,"axG",@progbits,_ZN9rocsparseL14nnz_kernel_rowILi64ELi16Ell21rocsparse_complex_numIdEEEv16rocsparse_order_T2_S4_PKT3_lPT1_,comdat
.Lfunc_end34:
	.size	_ZN9rocsparseL14nnz_kernel_rowILi64ELi16Ell21rocsparse_complex_numIdEEEv16rocsparse_order_T2_S4_PKT3_lPT1_, .Lfunc_end34-_ZN9rocsparseL14nnz_kernel_rowILi64ELi16Ell21rocsparse_complex_numIdEEEv16rocsparse_order_T2_S4_PKT3_lPT1_
                                        ; -- End function
	.set _ZN9rocsparseL14nnz_kernel_rowILi64ELi16Ell21rocsparse_complex_numIdEEEv16rocsparse_order_T2_S4_PKT3_lPT1_.num_vgpr, 49
	.set _ZN9rocsparseL14nnz_kernel_rowILi64ELi16Ell21rocsparse_complex_numIdEEEv16rocsparse_order_T2_S4_PKT3_lPT1_.num_agpr, 0
	.set _ZN9rocsparseL14nnz_kernel_rowILi64ELi16Ell21rocsparse_complex_numIdEEEv16rocsparse_order_T2_S4_PKT3_lPT1_.numbered_sgpr, 30
	.set _ZN9rocsparseL14nnz_kernel_rowILi64ELi16Ell21rocsparse_complex_numIdEEEv16rocsparse_order_T2_S4_PKT3_lPT1_.num_named_barrier, 0
	.set _ZN9rocsparseL14nnz_kernel_rowILi64ELi16Ell21rocsparse_complex_numIdEEEv16rocsparse_order_T2_S4_PKT3_lPT1_.private_seg_size, 0
	.set _ZN9rocsparseL14nnz_kernel_rowILi64ELi16Ell21rocsparse_complex_numIdEEEv16rocsparse_order_T2_S4_PKT3_lPT1_.uses_vcc, 1
	.set _ZN9rocsparseL14nnz_kernel_rowILi64ELi16Ell21rocsparse_complex_numIdEEEv16rocsparse_order_T2_S4_PKT3_lPT1_.uses_flat_scratch, 0
	.set _ZN9rocsparseL14nnz_kernel_rowILi64ELi16Ell21rocsparse_complex_numIdEEEv16rocsparse_order_T2_S4_PKT3_lPT1_.has_dyn_sized_stack, 0
	.set _ZN9rocsparseL14nnz_kernel_rowILi64ELi16Ell21rocsparse_complex_numIdEEEv16rocsparse_order_T2_S4_PKT3_lPT1_.has_recursion, 0
	.set _ZN9rocsparseL14nnz_kernel_rowILi64ELi16Ell21rocsparse_complex_numIdEEEv16rocsparse_order_T2_S4_PKT3_lPT1_.has_indirect_call, 0
	.section	.AMDGPU.csdata,"",@progbits
; Kernel info:
; codeLenInByte = 8928
; TotalNumSgprs: 32
; NumVgprs: 49
; ScratchSize: 0
; MemoryBound: 0
; FloatMode: 240
; IeeeMode: 1
; LDSByteSize: 32768 bytes/workgroup (compile time only)
; SGPRBlocks: 0
; VGPRBlocks: 6
; NumSGPRsForWavesPerEU: 32
; NumVGPRsForWavesPerEU: 49
; Occupancy: 16
; WaveLimiterHint : 0
; COMPUTE_PGM_RSRC2:SCRATCH_EN: 0
; COMPUTE_PGM_RSRC2:USER_SGPR: 6
; COMPUTE_PGM_RSRC2:TRAP_HANDLER: 0
; COMPUTE_PGM_RSRC2:TGID_X_EN: 1
; COMPUTE_PGM_RSRC2:TGID_Y_EN: 0
; COMPUTE_PGM_RSRC2:TGID_Z_EN: 0
; COMPUTE_PGM_RSRC2:TIDIG_COMP_CNT: 1
	.section	.text._ZN9rocsparseL14nnz_kernel_colILi256Ell21rocsparse_complex_numIdEEEv16rocsparse_order_T1_S4_PKT2_lPT0_,"axG",@progbits,_ZN9rocsparseL14nnz_kernel_colILi256Ell21rocsparse_complex_numIdEEEv16rocsparse_order_T1_S4_PKT2_lPT0_,comdat
	.globl	_ZN9rocsparseL14nnz_kernel_colILi256Ell21rocsparse_complex_numIdEEEv16rocsparse_order_T1_S4_PKT2_lPT0_ ; -- Begin function _ZN9rocsparseL14nnz_kernel_colILi256Ell21rocsparse_complex_numIdEEEv16rocsparse_order_T1_S4_PKT2_lPT0_
	.p2align	8
	.type	_ZN9rocsparseL14nnz_kernel_colILi256Ell21rocsparse_complex_numIdEEEv16rocsparse_order_T1_S4_PKT2_lPT0_,@function
_ZN9rocsparseL14nnz_kernel_colILi256Ell21rocsparse_complex_numIdEEEv16rocsparse_order_T1_S4_PKT2_lPT0_: ; @_ZN9rocsparseL14nnz_kernel_colILi256Ell21rocsparse_complex_numIdEEEv16rocsparse_order_T1_S4_PKT2_lPT0_
; %bb.0:
	s_clause 0x2
	s_load_dwordx2 s[2:3], s[4:5], 0x8
	s_load_dword s1, s[4:5], 0x0
	s_load_dwordx4 s[8:11], s[4:5], 0x18
	v_mov_b32_e32 v1, 0
	s_waitcnt lgkmcnt(0)
	s_ashr_i32 s0, s3, 31
	s_lshr_b32 s0, s0, 24
	s_add_u32 s7, s2, s0
	v_cmp_gt_i64_e64 s0, 0x100, s[2:3]
	s_addc_u32 s13, s3, 0
	s_and_b32 s12, s7, 0xffffff00
	s_cmp_eq_u32 s1, 1
	s_mov_b32 s7, 0
	s_cbranch_scc1 .LBB35_6
; %bb.1:
	v_mov_b32_e32 v2, 0
	v_mov_b32_e32 v3, 0
	s_and_b32 vcc_lo, exec_lo, s0
	s_cbranch_vccnz .LBB35_7
; %bb.2:
	v_mad_u64_u32 v[2:3], null, s10, v0, 0
	s_lshl_b64 s[0:1], s[6:7], 4
	s_mov_b64 s[16:17], 0
	s_add_u32 s0, s8, s0
	s_addc_u32 s1, s9, s1
	s_lshl_b64 s[14:15], s[10:11], 12
	v_mad_u64_u32 v[3:4], null, s11, v0, v[3:4]
	v_lshlrev_b64 v[2:3], 4, v[2:3]
	v_add_co_u32 v4, vcc_lo, s0, v2
	v_add_co_ci_u32_e64 v5, null, s1, v3, vcc_lo
	v_mov_b32_e32 v2, 0
	v_add_co_u32 v4, vcc_lo, v4, 8
	v_mov_b32_e32 v3, 0
	v_add_co_ci_u32_e64 v5, null, 0, v5, vcc_lo
	s_inst_prefetch 0x1
	s_branch .LBB35_4
	.p2align	6
.LBB35_3:                               ;   in Loop: Header=BB35_4 Depth=1
	s_or_b32 exec_lo, exec_lo, s1
	s_add_u32 s16, s16, 0x100
	s_addc_u32 s17, s17, 0
	v_add_co_u32 v4, vcc_lo, v4, s14
	v_cmp_ge_i64_e64 s0, s[16:17], s[12:13]
	v_add_co_ci_u32_e64 v5, null, s15, v5, vcc_lo
	s_and_b32 vcc_lo, exec_lo, s0
	s_cbranch_vccnz .LBB35_7
.LBB35_4:                               ; =>This Inner Loop Header: Depth=1
	v_add_co_u32 v6, s0, v0, s16
	v_add_co_ci_u32_e64 v7, null, 0, s17, s0
	s_mov_b32 s1, exec_lo
	v_cmpx_gt_i64_e64 s[2:3], v[6:7]
	s_cbranch_execz .LBB35_3
; %bb.5:                                ;   in Loop: Header=BB35_4 Depth=1
	global_load_dwordx4 v[6:9], v[4:5], off offset:-8
	s_waitcnt vmcnt(0)
	v_cmp_neq_f64_e32 vcc_lo, 0, v[6:7]
	v_cmp_neq_f64_e64 s0, 0, v[8:9]
	s_or_b32 s0, vcc_lo, s0
	v_cndmask_b32_e64 v6, 0, 1, s0
	v_add_co_u32 v2, vcc_lo, v2, v6
	v_add_co_ci_u32_e64 v3, null, 0, v3, vcc_lo
	s_branch .LBB35_3
.LBB35_6:
	s_mov_b32 s16, s7
                                        ; implicit-def: $vgpr2_vgpr3
                                        ; implicit-def: $vgpr6_vgpr7
	s_cbranch_execnz .LBB35_10
	s_branch .LBB35_16
.LBB35_7:
	s_inst_prefetch 0x2
	v_add_co_u32 v4, s0, s12, v0
	v_add_co_ci_u32_e64 v5, null, s13, 0, s0
	s_mov_b32 s0, 0
	s_mov_b32 s16, 0
	s_mov_b32 s1, exec_lo
                                        ; implicit-def: $vgpr6_vgpr7
	v_cmpx_gt_i64_e64 s[2:3], v[4:5]
	s_xor_b32 s1, exec_lo, s1
	s_cbranch_execz .LBB35_9
; %bb.8:
	v_mul_lo_u32 v6, v5, s10
	v_mul_lo_u32 v7, v4, s11
	v_mad_u64_u32 v[4:5], null, v4, s10, 0
	s_lshl_b64 s[14:15], s[6:7], 4
	s_mov_b32 s16, exec_lo
	v_add3_u32 v5, v5, v7, v6
	v_lshlrev_b64 v[4:5], 4, v[4:5]
	v_add_co_u32 v4, vcc_lo, s8, v4
	v_add_co_ci_u32_e64 v5, null, s9, v5, vcc_lo
	v_add_co_u32 v6, vcc_lo, v4, s14
	v_add_co_ci_u32_e64 v7, null, s15, v5, vcc_lo
.LBB35_9:
	s_or_b32 exec_lo, exec_lo, s1
	s_and_b32 vcc_lo, exec_lo, s0
	s_cbranch_vccz .LBB35_16
.LBB35_10:
	v_cmp_gt_i64_e32 vcc_lo, s[2:3], v[0:1]
	v_mov_b32_e32 v5, 0
	v_cmp_gt_i64_e64 s1, 0x100, s[2:3]
	v_mov_b32_e32 v2, 0
	v_mov_b32_e32 v3, 0
	s_mul_i32 s0, s11, s6
	v_cndmask_b32_e32 v4, 0, v0, vcc_lo
	s_mul_hi_u32 s11, s10, s6
	s_and_b32 vcc_lo, exec_lo, s1
	s_add_i32 s11, s11, s0
	s_mul_i32 s10, s10, s6
	v_lshlrev_b64 v[4:5], 4, v[4:5]
	s_cbranch_vccnz .LBB35_13
; %bb.11:
	s_lshl_b64 s[0:1], s[10:11], 4
	v_mov_b32_e32 v2, 0
	s_add_u32 s0, s8, s0
	s_addc_u32 s1, s9, s1
	v_add_co_u32 v1, vcc_lo, s0, v4
	v_add_co_ci_u32_e64 v7, null, s1, v5, vcc_lo
	v_mov_b32_e32 v3, 0
	v_add_co_u32 v6, vcc_lo, v1, 8
	v_add_co_ci_u32_e64 v7, null, 0, v7, vcc_lo
	s_mov_b64 s[14:15], 0
	.p2align	6
.LBB35_12:                              ; =>This Inner Loop Header: Depth=1
	global_load_dwordx4 v[8:11], v[6:7], off offset:-8
	v_add_co_u32 v6, s1, 0x1000, v6
	v_add_co_ci_u32_e64 v7, null, 0, v7, s1
	s_waitcnt vmcnt(0)
	v_cmp_neq_f64_e32 vcc_lo, 0, v[8:9]
	v_cmp_neq_f64_e64 s0, 0, v[10:11]
	s_or_b32 s0, vcc_lo, s0
	s_add_u32 s14, s14, 0x100
	v_cndmask_b32_e64 v1, 0, 1, s0
	s_addc_u32 s15, s15, 0
	v_cmp_ge_i64_e64 s1, s[14:15], s[12:13]
	v_add_co_u32 v2, vcc_lo, v2, v1
	v_add_co_ci_u32_e64 v3, null, 0, v3, vcc_lo
	s_and_b32 vcc_lo, exec_lo, s1
	s_cbranch_vccz .LBB35_12
.LBB35_13:
	v_add_co_u32 v6, s0, s12, v0
	v_add_co_ci_u32_e64 v7, null, s13, 0, s0
	v_cmp_gt_i64_e32 vcc_lo, s[2:3], v[6:7]
                                        ; implicit-def: $vgpr6_vgpr7
	s_and_saveexec_b32 s0, vcc_lo
; %bb.14:
	s_lshl_b64 s[10:11], s[10:11], 4
	s_add_u32 s1, s8, s10
	s_addc_u32 s8, s9, s11
	v_add_co_u32 v1, vcc_lo, s1, v4
	v_add_co_ci_u32_e64 v4, null, s8, v5, vcc_lo
	s_lshl_b64 s[8:9], s[12:13], 4
	s_or_b32 s16, s16, exec_lo
	v_add_co_u32 v6, vcc_lo, v1, s8
	v_add_co_ci_u32_e64 v7, null, s9, v4, vcc_lo
; %bb.15:
	s_or_b32 exec_lo, exec_lo, s0
.LBB35_16:
	s_and_saveexec_b32 s1, s16
	s_cbranch_execz .LBB35_18
; %bb.17:
	global_load_dwordx4 v[4:7], v[6:7], off
	s_waitcnt vmcnt(0)
	v_cmp_neq_f64_e32 vcc_lo, 0, v[4:5]
	v_cmp_neq_f64_e64 s0, 0, v[6:7]
	s_or_b32 s0, vcc_lo, s0
	v_cndmask_b32_e64 v1, 0, 1, s0
	v_add_co_u32 v2, vcc_lo, v2, v1
	v_add_co_ci_u32_e64 v3, null, 0, v3, vcc_lo
.LBB35_18:
	s_or_b32 exec_lo, exec_lo, s1
	v_cmp_gt_i64_e64 s0, 0x100, s[2:3]
	v_lshlrev_b32_e32 v4, 3, v0
	s_mov_b32 s1, -1
	ds_write_b64 v4, v[2:3]
	s_and_b32 vcc_lo, exec_lo, s0
	v_cmp_eq_u32_e64 s0, 0, v0
	s_waitcnt lgkmcnt(0)
	s_cbranch_vccz .LBB35_28
; %bb.19:
	v_cmp_gt_i64_e64 s1, s[2:3], 1
	s_mov_b64 s[8:9], 1
	s_barrier
	buffer_gl0_inv
	s_and_b32 s0, s0, s1
	s_and_saveexec_b32 s9, s0
	s_cbranch_execz .LBB35_27
; %bb.20:
	v_mov_b32_e32 v1, 0
	s_add_u32 s10, s2, -1
	s_addc_u32 s1, s3, -1
	s_add_u32 s2, s2, -2
	s_addc_u32 s3, s3, -1
	ds_read_b64 v[1:2], v1
	v_cmp_lt_u64_e64 s0, s[2:3], 7
	s_and_b32 vcc_lo, exec_lo, s0
	s_cbranch_vccnz .LBB35_23
; %bb.21:
	s_and_b32 s0, s10, -8
	s_mov_b64 s[2:3], 0
	s_mov_b32 s11, 8
	s_inst_prefetch 0x1
	.p2align	6
.LBB35_22:                              ; =>This Inner Loop Header: Depth=1
	v_mov_b32_e32 v3, s11
	s_add_u32 s12, s2, 8
	s_addc_u32 s13, s3, 0
	s_add_i32 s11, s11, 64
	s_add_u32 s8, s2, 9
	ds_read2_b64 v[5:8], v3 offset1:1
	ds_read2_b64 v[9:12], v3 offset0:2 offset1:3
	ds_read2_b64 v[13:16], v3 offset0:4 offset1:5
	s_cmp_lg_u64 s[0:1], s[12:13]
	s_mov_b64 s[2:3], s[12:13]
	s_waitcnt lgkmcnt(2)
	v_add_co_u32 v1, vcc_lo, v1, v5
	v_add_co_ci_u32_e64 v2, null, v2, v6, vcc_lo
	v_add_co_u32 v1, vcc_lo, v1, v7
	v_add_co_ci_u32_e64 v2, null, v2, v8, vcc_lo
	ds_read2_b64 v[5:8], v3 offset0:6 offset1:7
	s_waitcnt lgkmcnt(2)
	v_add_co_u32 v1, vcc_lo, v1, v9
	v_add_co_ci_u32_e64 v2, null, v2, v10, vcc_lo
	v_add_co_u32 v1, vcc_lo, v1, v11
	v_add_co_ci_u32_e64 v2, null, v2, v12, vcc_lo
	s_waitcnt lgkmcnt(1)
	v_add_co_u32 v1, vcc_lo, v1, v13
	v_add_co_ci_u32_e64 v2, null, v2, v14, vcc_lo
	v_add_co_u32 v1, vcc_lo, v1, v15
	v_add_co_ci_u32_e64 v2, null, v2, v16, vcc_lo
	;; [unrolled: 5-line block ×3, first 2 shown]
	s_cbranch_scc1 .LBB35_22
.LBB35_23:
	s_inst_prefetch 0x2
	s_and_b32 s0, s10, 7
	s_mov_b32 s1, 0
	s_cmp_eq_u64 s[0:1], 0
	s_cbranch_scc1 .LBB35_26
; %bb.24:
	s_lshl_b32 s2, s8, 3
.LBB35_25:                              ; =>This Inner Loop Header: Depth=1
	v_mov_b32_e32 v3, s2
	s_add_i32 s2, s2, 8
	s_add_u32 s0, s0, -1
	s_addc_u32 s1, s1, -1
	s_cmp_lg_u64 s[0:1], 0
	ds_read_b64 v[5:6], v3
	s_waitcnt lgkmcnt(0)
	v_add_co_u32 v1, vcc_lo, v1, v5
	v_add_co_ci_u32_e64 v2, null, v2, v6, vcc_lo
	s_cbranch_scc1 .LBB35_25
.LBB35_26:
	v_mov_b32_e32 v3, 0
	s_waitcnt lgkmcnt(0)
	ds_write_b64 v3, v[1:2]
.LBB35_27:
	s_or_b32 exec_lo, exec_lo, s9
	s_mov_b32 s1, 0
	s_waitcnt lgkmcnt(0)
	s_barrier
.LBB35_28:
	s_and_b32 vcc_lo, exec_lo, s1
	s_cbranch_vccz .LBB35_46
; %bb.29:
	s_mov_b32 s0, exec_lo
	s_barrier
	buffer_gl0_inv
	v_cmpx_gt_u32_e32 0x80, v0
	s_cbranch_execz .LBB35_31
; %bb.30:
	ds_read2st64_b64 v[5:8], v4 offset1:2
	s_waitcnt lgkmcnt(0)
	v_add_co_u32 v1, vcc_lo, v5, v7
	v_add_co_ci_u32_e64 v2, null, v6, v8, vcc_lo
	ds_write_b64 v4, v[1:2]
.LBB35_31:
	s_or_b32 exec_lo, exec_lo, s0
	s_mov_b32 s0, exec_lo
	s_waitcnt lgkmcnt(0)
	s_barrier
	buffer_gl0_inv
	v_cmpx_gt_u32_e32 64, v0
	s_cbranch_execz .LBB35_33
; %bb.32:
	ds_read2st64_b64 v[5:8], v4 offset1:1
	s_waitcnt lgkmcnt(0)
	v_add_co_u32 v1, vcc_lo, v5, v7
	v_add_co_ci_u32_e64 v2, null, v6, v8, vcc_lo
	ds_write_b64 v4, v[1:2]
.LBB35_33:
	s_or_b32 exec_lo, exec_lo, s0
	s_mov_b32 s0, exec_lo
	s_waitcnt lgkmcnt(0)
	s_barrier
	buffer_gl0_inv
	v_cmpx_gt_u32_e32 32, v0
	s_cbranch_execz .LBB35_35
; %bb.34:
	ds_read2_b64 v[5:8], v4 offset1:32
	s_waitcnt lgkmcnt(0)
	v_add_co_u32 v1, vcc_lo, v5, v7
	v_add_co_ci_u32_e64 v2, null, v6, v8, vcc_lo
	ds_write_b64 v4, v[1:2]
.LBB35_35:
	s_or_b32 exec_lo, exec_lo, s0
	s_mov_b32 s0, exec_lo
	s_waitcnt lgkmcnt(0)
	s_barrier
	buffer_gl0_inv
	v_cmpx_gt_u32_e32 16, v0
	s_cbranch_execz .LBB35_37
; %bb.36:
	ds_read2_b64 v[5:8], v4 offset1:16
	s_waitcnt lgkmcnt(0)
	v_add_co_u32 v1, vcc_lo, v5, v7
	v_add_co_ci_u32_e64 v2, null, v6, v8, vcc_lo
	ds_write_b64 v4, v[1:2]
.LBB35_37:
	;; [unrolled: 14-line block ×5, first 2 shown]
	s_or_b32 exec_lo, exec_lo, s0
	s_mov_b32 s0, exec_lo
	s_waitcnt lgkmcnt(0)
	s_barrier
	buffer_gl0_inv
	v_cmpx_eq_u32_e32 0, v0
	s_cbranch_execz .LBB35_45
; %bb.44:
	v_mov_b32_e32 v5, 0
	ds_read_b128 v[1:4], v5
	s_waitcnt lgkmcnt(0)
	v_add_co_u32 v1, vcc_lo, v1, v3
	v_add_co_ci_u32_e64 v2, null, v2, v4, vcc_lo
	ds_write_b64 v5, v[1:2]
.LBB35_45:
	s_or_b32 exec_lo, exec_lo, s0
	s_waitcnt lgkmcnt(0)
	s_barrier
.LBB35_46:
	buffer_gl0_inv
	s_mov_b32 s0, exec_lo
	v_cmpx_eq_u32_e32 0, v0
	s_cbranch_execz .LBB35_48
; %bb.47:
	v_mov_b32_e32 v2, 0
	s_load_dwordx2 s[0:1], s[4:5], 0x28
	s_lshl_b64 s[2:3], s[6:7], 3
	ds_read_b64 v[0:1], v2
	s_waitcnt lgkmcnt(0)
	s_add_u32 s0, s0, s2
	s_addc_u32 s1, s1, s3
	global_store_dwordx2 v2, v[0:1], s[0:1]
.LBB35_48:
	s_endpgm
	.section	.rodata,"a",@progbits
	.p2align	6, 0x0
	.amdhsa_kernel _ZN9rocsparseL14nnz_kernel_colILi256Ell21rocsparse_complex_numIdEEEv16rocsparse_order_T1_S4_PKT2_lPT0_
		.amdhsa_group_segment_fixed_size 2048
		.amdhsa_private_segment_fixed_size 0
		.amdhsa_kernarg_size 48
		.amdhsa_user_sgpr_count 6
		.amdhsa_user_sgpr_private_segment_buffer 1
		.amdhsa_user_sgpr_dispatch_ptr 0
		.amdhsa_user_sgpr_queue_ptr 0
		.amdhsa_user_sgpr_kernarg_segment_ptr 1
		.amdhsa_user_sgpr_dispatch_id 0
		.amdhsa_user_sgpr_flat_scratch_init 0
		.amdhsa_user_sgpr_private_segment_size 0
		.amdhsa_wavefront_size32 1
		.amdhsa_uses_dynamic_stack 0
		.amdhsa_system_sgpr_private_segment_wavefront_offset 0
		.amdhsa_system_sgpr_workgroup_id_x 1
		.amdhsa_system_sgpr_workgroup_id_y 0
		.amdhsa_system_sgpr_workgroup_id_z 0
		.amdhsa_system_sgpr_workgroup_info 0
		.amdhsa_system_vgpr_workitem_id 0
		.amdhsa_next_free_vgpr 17
		.amdhsa_next_free_sgpr 18
		.amdhsa_reserve_vcc 1
		.amdhsa_reserve_flat_scratch 0
		.amdhsa_float_round_mode_32 0
		.amdhsa_float_round_mode_16_64 0
		.amdhsa_float_denorm_mode_32 3
		.amdhsa_float_denorm_mode_16_64 3
		.amdhsa_dx10_clamp 1
		.amdhsa_ieee_mode 1
		.amdhsa_fp16_overflow 0
		.amdhsa_workgroup_processor_mode 1
		.amdhsa_memory_ordered 1
		.amdhsa_forward_progress 1
		.amdhsa_shared_vgpr_count 0
		.amdhsa_exception_fp_ieee_invalid_op 0
		.amdhsa_exception_fp_denorm_src 0
		.amdhsa_exception_fp_ieee_div_zero 0
		.amdhsa_exception_fp_ieee_overflow 0
		.amdhsa_exception_fp_ieee_underflow 0
		.amdhsa_exception_fp_ieee_inexact 0
		.amdhsa_exception_int_div_zero 0
	.end_amdhsa_kernel
	.section	.text._ZN9rocsparseL14nnz_kernel_colILi256Ell21rocsparse_complex_numIdEEEv16rocsparse_order_T1_S4_PKT2_lPT0_,"axG",@progbits,_ZN9rocsparseL14nnz_kernel_colILi256Ell21rocsparse_complex_numIdEEEv16rocsparse_order_T1_S4_PKT2_lPT0_,comdat
.Lfunc_end35:
	.size	_ZN9rocsparseL14nnz_kernel_colILi256Ell21rocsparse_complex_numIdEEEv16rocsparse_order_T1_S4_PKT2_lPT0_, .Lfunc_end35-_ZN9rocsparseL14nnz_kernel_colILi256Ell21rocsparse_complex_numIdEEEv16rocsparse_order_T1_S4_PKT2_lPT0_
                                        ; -- End function
	.set _ZN9rocsparseL14nnz_kernel_colILi256Ell21rocsparse_complex_numIdEEEv16rocsparse_order_T1_S4_PKT2_lPT0_.num_vgpr, 17
	.set _ZN9rocsparseL14nnz_kernel_colILi256Ell21rocsparse_complex_numIdEEEv16rocsparse_order_T1_S4_PKT2_lPT0_.num_agpr, 0
	.set _ZN9rocsparseL14nnz_kernel_colILi256Ell21rocsparse_complex_numIdEEEv16rocsparse_order_T1_S4_PKT2_lPT0_.numbered_sgpr, 18
	.set _ZN9rocsparseL14nnz_kernel_colILi256Ell21rocsparse_complex_numIdEEEv16rocsparse_order_T1_S4_PKT2_lPT0_.num_named_barrier, 0
	.set _ZN9rocsparseL14nnz_kernel_colILi256Ell21rocsparse_complex_numIdEEEv16rocsparse_order_T1_S4_PKT2_lPT0_.private_seg_size, 0
	.set _ZN9rocsparseL14nnz_kernel_colILi256Ell21rocsparse_complex_numIdEEEv16rocsparse_order_T1_S4_PKT2_lPT0_.uses_vcc, 1
	.set _ZN9rocsparseL14nnz_kernel_colILi256Ell21rocsparse_complex_numIdEEEv16rocsparse_order_T1_S4_PKT2_lPT0_.uses_flat_scratch, 0
	.set _ZN9rocsparseL14nnz_kernel_colILi256Ell21rocsparse_complex_numIdEEEv16rocsparse_order_T1_S4_PKT2_lPT0_.has_dyn_sized_stack, 0
	.set _ZN9rocsparseL14nnz_kernel_colILi256Ell21rocsparse_complex_numIdEEEv16rocsparse_order_T1_S4_PKT2_lPT0_.has_recursion, 0
	.set _ZN9rocsparseL14nnz_kernel_colILi256Ell21rocsparse_complex_numIdEEEv16rocsparse_order_T1_S4_PKT2_lPT0_.has_indirect_call, 0
	.section	.AMDGPU.csdata,"",@progbits
; Kernel info:
; codeLenInByte = 2036
; TotalNumSgprs: 20
; NumVgprs: 17
; ScratchSize: 0
; MemoryBound: 0
; FloatMode: 240
; IeeeMode: 1
; LDSByteSize: 2048 bytes/workgroup (compile time only)
; SGPRBlocks: 0
; VGPRBlocks: 2
; NumSGPRsForWavesPerEU: 20
; NumVGPRsForWavesPerEU: 17
; Occupancy: 16
; WaveLimiterHint : 0
; COMPUTE_PGM_RSRC2:SCRATCH_EN: 0
; COMPUTE_PGM_RSRC2:USER_SGPR: 6
; COMPUTE_PGM_RSRC2:TRAP_HANDLER: 0
; COMPUTE_PGM_RSRC2:TGID_X_EN: 1
; COMPUTE_PGM_RSRC2:TGID_Y_EN: 0
; COMPUTE_PGM_RSRC2:TGID_Z_EN: 0
; COMPUTE_PGM_RSRC2:TIDIG_COMP_CNT: 0
	.section	.AMDGPU.gpr_maximums,"",@progbits
	.set amdgpu.max_num_vgpr, 0
	.set amdgpu.max_num_agpr, 0
	.set amdgpu.max_num_sgpr, 0
	.section	.AMDGPU.csdata,"",@progbits
	.type	__hip_cuid_6451e7a0ef13b303,@object ; @__hip_cuid_6451e7a0ef13b303
	.section	.bss,"aw",@nobits
	.globl	__hip_cuid_6451e7a0ef13b303
__hip_cuid_6451e7a0ef13b303:
	.byte	0                               ; 0x0
	.size	__hip_cuid_6451e7a0ef13b303, 1

	.ident	"AMD clang version 22.0.0git (https://github.com/RadeonOpenCompute/llvm-project roc-7.2.4 26084 f58b06dce1f9c15707c5f808fd002e18c2accf7e)"
	.section	".note.GNU-stack","",@progbits
	.addrsig
	.addrsig_sym __hip_cuid_6451e7a0ef13b303
	.amdgpu_metadata
---
amdhsa.kernels:
  - .args:
      - .offset:         0
        .size:           4
        .value_kind:     by_value
      - .offset:         4
        .size:           4
        .value_kind:     by_value
      - .offset:         8
        .size:           4
        .value_kind:     by_value
      - .actual_access:  read_only
        .address_space:  global
        .offset:         16
        .size:           8
        .value_kind:     global_buffer
      - .offset:         24
        .size:           8
        .value_kind:     by_value
      - .actual_access:  write_only
        .address_space:  global
        .offset:         32
        .size:           8
        .value_kind:     global_buffer
      - .offset:         40
        .size:           4
        .value_kind:     hidden_block_count_x
      - .offset:         44
        .size:           4
        .value_kind:     hidden_block_count_y
      - .offset:         48
        .size:           4
        .value_kind:     hidden_block_count_z
      - .offset:         52
        .size:           2
        .value_kind:     hidden_group_size_x
      - .offset:         54
        .size:           2
        .value_kind:     hidden_group_size_y
      - .offset:         56
        .size:           2
        .value_kind:     hidden_group_size_z
      - .offset:         58
        .size:           2
        .value_kind:     hidden_remainder_x
      - .offset:         60
        .size:           2
        .value_kind:     hidden_remainder_y
      - .offset:         62
        .size:           2
        .value_kind:     hidden_remainder_z
      - .offset:         80
        .size:           8
        .value_kind:     hidden_global_offset_x
      - .offset:         88
        .size:           8
        .value_kind:     hidden_global_offset_y
      - .offset:         96
        .size:           8
        .value_kind:     hidden_global_offset_z
      - .offset:         104
        .size:           2
        .value_kind:     hidden_grid_dims
    .group_segment_fixed_size: 16384
    .kernarg_segment_align: 8
    .kernarg_segment_size: 296
    .language:       OpenCL C
    .language_version:
      - 2
      - 0
    .max_flat_workgroup_size: 1024
    .name:           _ZN9rocsparseL14nnz_kernel_rowILi64ELi16EiiDF16_EEv16rocsparse_order_T2_S2_PKT3_lPT1_
    .private_segment_fixed_size: 0
    .sgpr_count:     24
    .sgpr_spill_count: 0
    .symbol:         _ZN9rocsparseL14nnz_kernel_rowILi64ELi16EiiDF16_EEv16rocsparse_order_T2_S2_PKT3_lPT1_.kd
    .uniform_work_group_size: 1
    .uses_dynamic_stack: false
    .vgpr_count:     34
    .vgpr_spill_count: 0
    .wavefront_size: 32
    .workgroup_processor_mode: 1
  - .args:
      - .offset:         0
        .size:           4
        .value_kind:     by_value
      - .offset:         4
        .size:           4
        .value_kind:     by_value
      - .offset:         8
        .size:           4
        .value_kind:     by_value
      - .actual_access:  read_only
        .address_space:  global
        .offset:         16
        .size:           8
        .value_kind:     global_buffer
      - .offset:         24
        .size:           8
        .value_kind:     by_value
      - .actual_access:  write_only
        .address_space:  global
        .offset:         32
        .size:           8
        .value_kind:     global_buffer
    .group_segment_fixed_size: 1024
    .kernarg_segment_align: 8
    .kernarg_segment_size: 40
    .language:       OpenCL C
    .language_version:
      - 2
      - 0
    .max_flat_workgroup_size: 256
    .name:           _ZN9rocsparseL14nnz_kernel_colILi256EiiDF16_EEv16rocsparse_order_T1_S2_PKT2_lPT0_
    .private_segment_fixed_size: 0
    .sgpr_count:     16
    .sgpr_spill_count: 0
    .symbol:         _ZN9rocsparseL14nnz_kernel_colILi256EiiDF16_EEv16rocsparse_order_T1_S2_PKT2_lPT0_.kd
    .uniform_work_group_size: 1
    .uses_dynamic_stack: false
    .vgpr_count:     11
    .vgpr_spill_count: 0
    .wavefront_size: 32
    .workgroup_processor_mode: 1
  - .args:
      - .offset:         0
        .size:           4
        .value_kind:     by_value
      - .offset:         4
        .size:           4
        .value_kind:     by_value
      - .offset:         8
        .size:           4
        .value_kind:     by_value
      - .actual_access:  read_only
        .address_space:  global
        .offset:         16
        .size:           8
        .value_kind:     global_buffer
      - .offset:         24
        .size:           8
        .value_kind:     by_value
      - .actual_access:  write_only
        .address_space:  global
        .offset:         32
        .size:           8
        .value_kind:     global_buffer
      - .offset:         40
        .size:           4
        .value_kind:     hidden_block_count_x
      - .offset:         44
        .size:           4
        .value_kind:     hidden_block_count_y
      - .offset:         48
        .size:           4
        .value_kind:     hidden_block_count_z
      - .offset:         52
        .size:           2
        .value_kind:     hidden_group_size_x
      - .offset:         54
        .size:           2
        .value_kind:     hidden_group_size_y
      - .offset:         56
        .size:           2
        .value_kind:     hidden_group_size_z
      - .offset:         58
        .size:           2
        .value_kind:     hidden_remainder_x
      - .offset:         60
        .size:           2
        .value_kind:     hidden_remainder_y
      - .offset:         62
        .size:           2
        .value_kind:     hidden_remainder_z
      - .offset:         80
        .size:           8
        .value_kind:     hidden_global_offset_x
      - .offset:         88
        .size:           8
        .value_kind:     hidden_global_offset_y
      - .offset:         96
        .size:           8
        .value_kind:     hidden_global_offset_z
      - .offset:         104
        .size:           2
        .value_kind:     hidden_grid_dims
    .group_segment_fixed_size: 16384
    .kernarg_segment_align: 8
    .kernarg_segment_size: 296
    .language:       OpenCL C
    .language_version:
      - 2
      - 0
    .max_flat_workgroup_size: 1024
    .name:           _ZN9rocsparseL14nnz_kernel_rowILi64ELi16Eii18rocsparse_bfloat16EEv16rocsparse_order_T2_S3_PKT3_lPT1_
    .private_segment_fixed_size: 0
    .sgpr_count:     24
    .sgpr_spill_count: 0
    .symbol:         _ZN9rocsparseL14nnz_kernel_rowILi64ELi16Eii18rocsparse_bfloat16EEv16rocsparse_order_T2_S3_PKT3_lPT1_.kd
    .uniform_work_group_size: 1
    .uses_dynamic_stack: false
    .vgpr_count:     34
    .vgpr_spill_count: 0
    .wavefront_size: 32
    .workgroup_processor_mode: 1
  - .args:
      - .offset:         0
        .size:           4
        .value_kind:     by_value
      - .offset:         4
        .size:           4
        .value_kind:     by_value
      - .offset:         8
        .size:           4
        .value_kind:     by_value
      - .actual_access:  read_only
        .address_space:  global
        .offset:         16
        .size:           8
        .value_kind:     global_buffer
      - .offset:         24
        .size:           8
        .value_kind:     by_value
      - .actual_access:  write_only
        .address_space:  global
        .offset:         32
        .size:           8
        .value_kind:     global_buffer
    .group_segment_fixed_size: 1024
    .kernarg_segment_align: 8
    .kernarg_segment_size: 40
    .language:       OpenCL C
    .language_version:
      - 2
      - 0
    .max_flat_workgroup_size: 256
    .name:           _ZN9rocsparseL14nnz_kernel_colILi256Eii18rocsparse_bfloat16EEv16rocsparse_order_T1_S3_PKT2_lPT0_
    .private_segment_fixed_size: 0
    .sgpr_count:     16
    .sgpr_spill_count: 0
    .symbol:         _ZN9rocsparseL14nnz_kernel_colILi256Eii18rocsparse_bfloat16EEv16rocsparse_order_T1_S3_PKT2_lPT0_.kd
    .uniform_work_group_size: 1
    .uses_dynamic_stack: false
    .vgpr_count:     11
    .vgpr_spill_count: 0
    .wavefront_size: 32
    .workgroup_processor_mode: 1
  - .args:
      - .offset:         0
        .size:           4
        .value_kind:     by_value
      - .offset:         4
        .size:           4
        .value_kind:     by_value
      - .offset:         8
        .size:           4
        .value_kind:     by_value
      - .actual_access:  read_only
        .address_space:  global
        .offset:         16
        .size:           8
        .value_kind:     global_buffer
      - .offset:         24
        .size:           8
        .value_kind:     by_value
      - .actual_access:  write_only
        .address_space:  global
        .offset:         32
        .size:           8
        .value_kind:     global_buffer
      - .offset:         40
        .size:           4
        .value_kind:     hidden_block_count_x
      - .offset:         44
        .size:           4
        .value_kind:     hidden_block_count_y
      - .offset:         48
        .size:           4
        .value_kind:     hidden_block_count_z
      - .offset:         52
        .size:           2
        .value_kind:     hidden_group_size_x
      - .offset:         54
        .size:           2
        .value_kind:     hidden_group_size_y
      - .offset:         56
        .size:           2
        .value_kind:     hidden_group_size_z
      - .offset:         58
        .size:           2
        .value_kind:     hidden_remainder_x
      - .offset:         60
        .size:           2
        .value_kind:     hidden_remainder_y
      - .offset:         62
        .size:           2
        .value_kind:     hidden_remainder_z
      - .offset:         80
        .size:           8
        .value_kind:     hidden_global_offset_x
      - .offset:         88
        .size:           8
        .value_kind:     hidden_global_offset_y
      - .offset:         96
        .size:           8
        .value_kind:     hidden_global_offset_z
      - .offset:         104
        .size:           2
        .value_kind:     hidden_grid_dims
    .group_segment_fixed_size: 16384
    .kernarg_segment_align: 8
    .kernarg_segment_size: 296
    .language:       OpenCL C
    .language_version:
      - 2
      - 0
    .max_flat_workgroup_size: 1024
    .name:           _ZN9rocsparseL14nnz_kernel_rowILi64ELi16EiifEEv16rocsparse_order_T2_S2_PKT3_lPT1_
    .private_segment_fixed_size: 0
    .sgpr_count:     24
    .sgpr_spill_count: 0
    .symbol:         _ZN9rocsparseL14nnz_kernel_rowILi64ELi16EiifEEv16rocsparse_order_T2_S2_PKT3_lPT1_.kd
    .uniform_work_group_size: 1
    .uses_dynamic_stack: false
    .vgpr_count:     34
    .vgpr_spill_count: 0
    .wavefront_size: 32
    .workgroup_processor_mode: 1
  - .args:
      - .offset:         0
        .size:           4
        .value_kind:     by_value
      - .offset:         4
        .size:           4
        .value_kind:     by_value
      - .offset:         8
        .size:           4
        .value_kind:     by_value
      - .actual_access:  read_only
        .address_space:  global
        .offset:         16
        .size:           8
        .value_kind:     global_buffer
      - .offset:         24
        .size:           8
        .value_kind:     by_value
      - .actual_access:  write_only
        .address_space:  global
        .offset:         32
        .size:           8
        .value_kind:     global_buffer
    .group_segment_fixed_size: 1024
    .kernarg_segment_align: 8
    .kernarg_segment_size: 40
    .language:       OpenCL C
    .language_version:
      - 2
      - 0
    .max_flat_workgroup_size: 256
    .name:           _ZN9rocsparseL14nnz_kernel_colILi256EiifEEv16rocsparse_order_T1_S2_PKT2_lPT0_
    .private_segment_fixed_size: 0
    .sgpr_count:     16
    .sgpr_spill_count: 0
    .symbol:         _ZN9rocsparseL14nnz_kernel_colILi256EiifEEv16rocsparse_order_T1_S2_PKT2_lPT0_.kd
    .uniform_work_group_size: 1
    .uses_dynamic_stack: false
    .vgpr_count:     11
    .vgpr_spill_count: 0
    .wavefront_size: 32
    .workgroup_processor_mode: 1
  - .args:
      - .offset:         0
        .size:           4
        .value_kind:     by_value
      - .offset:         4
        .size:           4
        .value_kind:     by_value
      - .offset:         8
        .size:           4
        .value_kind:     by_value
      - .actual_access:  read_only
        .address_space:  global
        .offset:         16
        .size:           8
        .value_kind:     global_buffer
      - .offset:         24
        .size:           8
        .value_kind:     by_value
      - .actual_access:  write_only
        .address_space:  global
        .offset:         32
        .size:           8
        .value_kind:     global_buffer
      - .offset:         40
        .size:           4
        .value_kind:     hidden_block_count_x
      - .offset:         44
        .size:           4
        .value_kind:     hidden_block_count_y
      - .offset:         48
        .size:           4
        .value_kind:     hidden_block_count_z
      - .offset:         52
        .size:           2
        .value_kind:     hidden_group_size_x
      - .offset:         54
        .size:           2
        .value_kind:     hidden_group_size_y
      - .offset:         56
        .size:           2
        .value_kind:     hidden_group_size_z
      - .offset:         58
        .size:           2
        .value_kind:     hidden_remainder_x
      - .offset:         60
        .size:           2
        .value_kind:     hidden_remainder_y
      - .offset:         62
        .size:           2
        .value_kind:     hidden_remainder_z
      - .offset:         80
        .size:           8
        .value_kind:     hidden_global_offset_x
      - .offset:         88
        .size:           8
        .value_kind:     hidden_global_offset_y
      - .offset:         96
        .size:           8
        .value_kind:     hidden_global_offset_z
      - .offset:         104
        .size:           2
        .value_kind:     hidden_grid_dims
    .group_segment_fixed_size: 16384
    .kernarg_segment_align: 8
    .kernarg_segment_size: 296
    .language:       OpenCL C
    .language_version:
      - 2
      - 0
    .max_flat_workgroup_size: 1024
    .name:           _ZN9rocsparseL14nnz_kernel_rowILi64ELi16EiidEEv16rocsparse_order_T2_S2_PKT3_lPT1_
    .private_segment_fixed_size: 0
    .sgpr_count:     24
    .sgpr_spill_count: 0
    .symbol:         _ZN9rocsparseL14nnz_kernel_rowILi64ELi16EiidEEv16rocsparse_order_T2_S2_PKT3_lPT1_.kd
    .uniform_work_group_size: 1
    .uses_dynamic_stack: false
    .vgpr_count:     36
    .vgpr_spill_count: 0
    .wavefront_size: 32
    .workgroup_processor_mode: 1
  - .args:
      - .offset:         0
        .size:           4
        .value_kind:     by_value
      - .offset:         4
        .size:           4
        .value_kind:     by_value
      - .offset:         8
        .size:           4
        .value_kind:     by_value
      - .actual_access:  read_only
        .address_space:  global
        .offset:         16
        .size:           8
        .value_kind:     global_buffer
      - .offset:         24
        .size:           8
        .value_kind:     by_value
      - .actual_access:  write_only
        .address_space:  global
        .offset:         32
        .size:           8
        .value_kind:     global_buffer
    .group_segment_fixed_size: 1024
    .kernarg_segment_align: 8
    .kernarg_segment_size: 40
    .language:       OpenCL C
    .language_version:
      - 2
      - 0
    .max_flat_workgroup_size: 256
    .name:           _ZN9rocsparseL14nnz_kernel_colILi256EiidEEv16rocsparse_order_T1_S2_PKT2_lPT0_
    .private_segment_fixed_size: 0
    .sgpr_count:     16
    .sgpr_spill_count: 0
    .symbol:         _ZN9rocsparseL14nnz_kernel_colILi256EiidEEv16rocsparse_order_T1_S2_PKT2_lPT0_.kd
    .uniform_work_group_size: 1
    .uses_dynamic_stack: false
    .vgpr_count:     11
    .vgpr_spill_count: 0
    .wavefront_size: 32
    .workgroup_processor_mode: 1
  - .args:
      - .offset:         0
        .size:           4
        .value_kind:     by_value
      - .offset:         4
        .size:           4
        .value_kind:     by_value
      - .offset:         8
        .size:           4
        .value_kind:     by_value
      - .actual_access:  read_only
        .address_space:  global
        .offset:         16
        .size:           8
        .value_kind:     global_buffer
      - .offset:         24
        .size:           8
        .value_kind:     by_value
      - .actual_access:  write_only
        .address_space:  global
        .offset:         32
        .size:           8
        .value_kind:     global_buffer
      - .offset:         40
        .size:           4
        .value_kind:     hidden_block_count_x
      - .offset:         44
        .size:           4
        .value_kind:     hidden_block_count_y
      - .offset:         48
        .size:           4
        .value_kind:     hidden_block_count_z
      - .offset:         52
        .size:           2
        .value_kind:     hidden_group_size_x
      - .offset:         54
        .size:           2
        .value_kind:     hidden_group_size_y
      - .offset:         56
        .size:           2
        .value_kind:     hidden_group_size_z
      - .offset:         58
        .size:           2
        .value_kind:     hidden_remainder_x
      - .offset:         60
        .size:           2
        .value_kind:     hidden_remainder_y
      - .offset:         62
        .size:           2
        .value_kind:     hidden_remainder_z
      - .offset:         80
        .size:           8
        .value_kind:     hidden_global_offset_x
      - .offset:         88
        .size:           8
        .value_kind:     hidden_global_offset_y
      - .offset:         96
        .size:           8
        .value_kind:     hidden_global_offset_z
      - .offset:         104
        .size:           2
        .value_kind:     hidden_grid_dims
    .group_segment_fixed_size: 16384
    .kernarg_segment_align: 8
    .kernarg_segment_size: 296
    .language:       OpenCL C
    .language_version:
      - 2
      - 0
    .max_flat_workgroup_size: 1024
    .name:           _ZN9rocsparseL14nnz_kernel_rowILi64ELi16Eii21rocsparse_complex_numIfEEEv16rocsparse_order_T2_S4_PKT3_lPT1_
    .private_segment_fixed_size: 0
    .sgpr_count:     24
    .sgpr_spill_count: 0
    .symbol:         _ZN9rocsparseL14nnz_kernel_rowILi64ELi16Eii21rocsparse_complex_numIfEEEv16rocsparse_order_T2_S4_PKT3_lPT1_.kd
    .uniform_work_group_size: 1
    .uses_dynamic_stack: false
    .vgpr_count:     36
    .vgpr_spill_count: 0
    .wavefront_size: 32
    .workgroup_processor_mode: 1
  - .args:
      - .offset:         0
        .size:           4
        .value_kind:     by_value
      - .offset:         4
        .size:           4
        .value_kind:     by_value
      - .offset:         8
        .size:           4
        .value_kind:     by_value
      - .actual_access:  read_only
        .address_space:  global
        .offset:         16
        .size:           8
        .value_kind:     global_buffer
      - .offset:         24
        .size:           8
        .value_kind:     by_value
      - .actual_access:  write_only
        .address_space:  global
        .offset:         32
        .size:           8
        .value_kind:     global_buffer
    .group_segment_fixed_size: 1024
    .kernarg_segment_align: 8
    .kernarg_segment_size: 40
    .language:       OpenCL C
    .language_version:
      - 2
      - 0
    .max_flat_workgroup_size: 256
    .name:           _ZN9rocsparseL14nnz_kernel_colILi256Eii21rocsparse_complex_numIfEEEv16rocsparse_order_T1_S4_PKT2_lPT0_
    .private_segment_fixed_size: 0
    .sgpr_count:     18
    .sgpr_spill_count: 0
    .symbol:         _ZN9rocsparseL14nnz_kernel_colILi256Eii21rocsparse_complex_numIfEEEv16rocsparse_order_T1_S4_PKT2_lPT0_.kd
    .uniform_work_group_size: 1
    .uses_dynamic_stack: false
    .vgpr_count:     11
    .vgpr_spill_count: 0
    .wavefront_size: 32
    .workgroup_processor_mode: 1
  - .args:
      - .offset:         0
        .size:           4
        .value_kind:     by_value
      - .offset:         4
        .size:           4
        .value_kind:     by_value
      - .offset:         8
        .size:           4
        .value_kind:     by_value
      - .actual_access:  read_only
        .address_space:  global
        .offset:         16
        .size:           8
        .value_kind:     global_buffer
      - .offset:         24
        .size:           8
        .value_kind:     by_value
      - .actual_access:  write_only
        .address_space:  global
        .offset:         32
        .size:           8
        .value_kind:     global_buffer
      - .offset:         40
        .size:           4
        .value_kind:     hidden_block_count_x
      - .offset:         44
        .size:           4
        .value_kind:     hidden_block_count_y
      - .offset:         48
        .size:           4
        .value_kind:     hidden_block_count_z
      - .offset:         52
        .size:           2
        .value_kind:     hidden_group_size_x
      - .offset:         54
        .size:           2
        .value_kind:     hidden_group_size_y
      - .offset:         56
        .size:           2
        .value_kind:     hidden_group_size_z
      - .offset:         58
        .size:           2
        .value_kind:     hidden_remainder_x
      - .offset:         60
        .size:           2
        .value_kind:     hidden_remainder_y
      - .offset:         62
        .size:           2
        .value_kind:     hidden_remainder_z
      - .offset:         80
        .size:           8
        .value_kind:     hidden_global_offset_x
      - .offset:         88
        .size:           8
        .value_kind:     hidden_global_offset_y
      - .offset:         96
        .size:           8
        .value_kind:     hidden_global_offset_z
      - .offset:         104
        .size:           2
        .value_kind:     hidden_grid_dims
    .group_segment_fixed_size: 16384
    .kernarg_segment_align: 8
    .kernarg_segment_size: 296
    .language:       OpenCL C
    .language_version:
      - 2
      - 0
    .max_flat_workgroup_size: 1024
    .name:           _ZN9rocsparseL14nnz_kernel_rowILi64ELi16Eii21rocsparse_complex_numIdEEEv16rocsparse_order_T2_S4_PKT3_lPT1_
    .private_segment_fixed_size: 0
    .sgpr_count:     28
    .sgpr_spill_count: 0
    .symbol:         _ZN9rocsparseL14nnz_kernel_rowILi64ELi16Eii21rocsparse_complex_numIdEEEv16rocsparse_order_T2_S4_PKT3_lPT1_.kd
    .uniform_work_group_size: 1
    .uses_dynamic_stack: false
    .vgpr_count:     60
    .vgpr_spill_count: 0
    .wavefront_size: 32
    .workgroup_processor_mode: 1
  - .args:
      - .offset:         0
        .size:           4
        .value_kind:     by_value
      - .offset:         4
        .size:           4
        .value_kind:     by_value
      - .offset:         8
        .size:           4
        .value_kind:     by_value
      - .actual_access:  read_only
        .address_space:  global
        .offset:         16
        .size:           8
        .value_kind:     global_buffer
      - .offset:         24
        .size:           8
        .value_kind:     by_value
      - .actual_access:  write_only
        .address_space:  global
        .offset:         32
        .size:           8
        .value_kind:     global_buffer
    .group_segment_fixed_size: 1024
    .kernarg_segment_align: 8
    .kernarg_segment_size: 40
    .language:       OpenCL C
    .language_version:
      - 2
      - 0
    .max_flat_workgroup_size: 256
    .name:           _ZN9rocsparseL14nnz_kernel_colILi256Eii21rocsparse_complex_numIdEEEv16rocsparse_order_T1_S4_PKT2_lPT0_
    .private_segment_fixed_size: 0
    .sgpr_count:     18
    .sgpr_spill_count: 0
    .symbol:         _ZN9rocsparseL14nnz_kernel_colILi256Eii21rocsparse_complex_numIdEEEv16rocsparse_order_T1_S4_PKT2_lPT0_.kd
    .uniform_work_group_size: 1
    .uses_dynamic_stack: false
    .vgpr_count:     11
    .vgpr_spill_count: 0
    .wavefront_size: 32
    .workgroup_processor_mode: 1
  - .args:
      - .offset:         0
        .size:           4
        .value_kind:     by_value
      - .offset:         4
        .size:           4
        .value_kind:     by_value
      - .offset:         8
        .size:           4
        .value_kind:     by_value
      - .actual_access:  read_only
        .address_space:  global
        .offset:         16
        .size:           8
        .value_kind:     global_buffer
      - .offset:         24
        .size:           8
        .value_kind:     by_value
      - .actual_access:  write_only
        .address_space:  global
        .offset:         32
        .size:           8
        .value_kind:     global_buffer
      - .offset:         40
        .size:           4
        .value_kind:     hidden_block_count_x
      - .offset:         44
        .size:           4
        .value_kind:     hidden_block_count_y
      - .offset:         48
        .size:           4
        .value_kind:     hidden_block_count_z
      - .offset:         52
        .size:           2
        .value_kind:     hidden_group_size_x
      - .offset:         54
        .size:           2
        .value_kind:     hidden_group_size_y
      - .offset:         56
        .size:           2
        .value_kind:     hidden_group_size_z
      - .offset:         58
        .size:           2
        .value_kind:     hidden_remainder_x
      - .offset:         60
        .size:           2
        .value_kind:     hidden_remainder_y
      - .offset:         62
        .size:           2
        .value_kind:     hidden_remainder_z
      - .offset:         80
        .size:           8
        .value_kind:     hidden_global_offset_x
      - .offset:         88
        .size:           8
        .value_kind:     hidden_global_offset_y
      - .offset:         96
        .size:           8
        .value_kind:     hidden_global_offset_z
      - .offset:         104
        .size:           2
        .value_kind:     hidden_grid_dims
    .group_segment_fixed_size: 32768
    .kernarg_segment_align: 8
    .kernarg_segment_size: 296
    .language:       OpenCL C
    .language_version:
      - 2
      - 0
    .max_flat_workgroup_size: 1024
    .name:           _ZN9rocsparseL14nnz_kernel_rowILi64ELi16Eli18rocsparse_bfloat16EEv16rocsparse_order_T2_S3_PKT3_lPT1_
    .private_segment_fixed_size: 0
    .sgpr_count:     24
    .sgpr_spill_count: 0
    .symbol:         _ZN9rocsparseL14nnz_kernel_rowILi64ELi16Eli18rocsparse_bfloat16EEv16rocsparse_order_T2_S3_PKT3_lPT1_.kd
    .uniform_work_group_size: 1
    .uses_dynamic_stack: false
    .vgpr_count:     42
    .vgpr_spill_count: 0
    .wavefront_size: 32
    .workgroup_processor_mode: 1
  - .args:
      - .offset:         0
        .size:           4
        .value_kind:     by_value
      - .offset:         4
        .size:           4
        .value_kind:     by_value
      - .offset:         8
        .size:           4
        .value_kind:     by_value
      - .actual_access:  read_only
        .address_space:  global
        .offset:         16
        .size:           8
        .value_kind:     global_buffer
      - .offset:         24
        .size:           8
        .value_kind:     by_value
      - .actual_access:  write_only
        .address_space:  global
        .offset:         32
        .size:           8
        .value_kind:     global_buffer
    .group_segment_fixed_size: 2048
    .kernarg_segment_align: 8
    .kernarg_segment_size: 40
    .language:       OpenCL C
    .language_version:
      - 2
      - 0
    .max_flat_workgroup_size: 256
    .name:           _ZN9rocsparseL14nnz_kernel_colILi256Eli18rocsparse_bfloat16EEv16rocsparse_order_T1_S3_PKT2_lPT0_
    .private_segment_fixed_size: 0
    .sgpr_count:     16
    .sgpr_spill_count: 0
    .symbol:         _ZN9rocsparseL14nnz_kernel_colILi256Eli18rocsparse_bfloat16EEv16rocsparse_order_T1_S3_PKT2_lPT0_.kd
    .uniform_work_group_size: 1
    .uses_dynamic_stack: false
    .vgpr_count:     17
    .vgpr_spill_count: 0
    .wavefront_size: 32
    .workgroup_processor_mode: 1
  - .args:
      - .offset:         0
        .size:           4
        .value_kind:     by_value
      - .offset:         4
        .size:           4
        .value_kind:     by_value
      - .offset:         8
        .size:           4
        .value_kind:     by_value
      - .actual_access:  read_only
        .address_space:  global
        .offset:         16
        .size:           8
        .value_kind:     global_buffer
      - .offset:         24
        .size:           8
        .value_kind:     by_value
      - .actual_access:  write_only
        .address_space:  global
        .offset:         32
        .size:           8
        .value_kind:     global_buffer
      - .offset:         40
        .size:           4
        .value_kind:     hidden_block_count_x
      - .offset:         44
        .size:           4
        .value_kind:     hidden_block_count_y
      - .offset:         48
        .size:           4
        .value_kind:     hidden_block_count_z
      - .offset:         52
        .size:           2
        .value_kind:     hidden_group_size_x
      - .offset:         54
        .size:           2
        .value_kind:     hidden_group_size_y
      - .offset:         56
        .size:           2
        .value_kind:     hidden_group_size_z
      - .offset:         58
        .size:           2
        .value_kind:     hidden_remainder_x
      - .offset:         60
        .size:           2
        .value_kind:     hidden_remainder_y
      - .offset:         62
        .size:           2
        .value_kind:     hidden_remainder_z
      - .offset:         80
        .size:           8
        .value_kind:     hidden_global_offset_x
      - .offset:         88
        .size:           8
        .value_kind:     hidden_global_offset_y
      - .offset:         96
        .size:           8
        .value_kind:     hidden_global_offset_z
      - .offset:         104
        .size:           2
        .value_kind:     hidden_grid_dims
    .group_segment_fixed_size: 32768
    .kernarg_segment_align: 8
    .kernarg_segment_size: 296
    .language:       OpenCL C
    .language_version:
      - 2
      - 0
    .max_flat_workgroup_size: 1024
    .name:           _ZN9rocsparseL14nnz_kernel_rowILi64ELi16EliDF16_EEv16rocsparse_order_T2_S2_PKT3_lPT1_
    .private_segment_fixed_size: 0
    .sgpr_count:     24
    .sgpr_spill_count: 0
    .symbol:         _ZN9rocsparseL14nnz_kernel_rowILi64ELi16EliDF16_EEv16rocsparse_order_T2_S2_PKT3_lPT1_.kd
    .uniform_work_group_size: 1
    .uses_dynamic_stack: false
    .vgpr_count:     42
    .vgpr_spill_count: 0
    .wavefront_size: 32
    .workgroup_processor_mode: 1
  - .args:
      - .offset:         0
        .size:           4
        .value_kind:     by_value
      - .offset:         4
        .size:           4
        .value_kind:     by_value
      - .offset:         8
        .size:           4
        .value_kind:     by_value
      - .actual_access:  read_only
        .address_space:  global
        .offset:         16
        .size:           8
        .value_kind:     global_buffer
      - .offset:         24
        .size:           8
        .value_kind:     by_value
      - .actual_access:  write_only
        .address_space:  global
        .offset:         32
        .size:           8
        .value_kind:     global_buffer
    .group_segment_fixed_size: 2048
    .kernarg_segment_align: 8
    .kernarg_segment_size: 40
    .language:       OpenCL C
    .language_version:
      - 2
      - 0
    .max_flat_workgroup_size: 256
    .name:           _ZN9rocsparseL14nnz_kernel_colILi256EliDF16_EEv16rocsparse_order_T1_S2_PKT2_lPT0_
    .private_segment_fixed_size: 0
    .sgpr_count:     16
    .sgpr_spill_count: 0
    .symbol:         _ZN9rocsparseL14nnz_kernel_colILi256EliDF16_EEv16rocsparse_order_T1_S2_PKT2_lPT0_.kd
    .uniform_work_group_size: 1
    .uses_dynamic_stack: false
    .vgpr_count:     17
    .vgpr_spill_count: 0
    .wavefront_size: 32
    .workgroup_processor_mode: 1
  - .args:
      - .offset:         0
        .size:           4
        .value_kind:     by_value
      - .offset:         4
        .size:           4
        .value_kind:     by_value
      - .offset:         8
        .size:           4
        .value_kind:     by_value
      - .actual_access:  read_only
        .address_space:  global
        .offset:         16
        .size:           8
        .value_kind:     global_buffer
      - .offset:         24
        .size:           8
        .value_kind:     by_value
      - .actual_access:  write_only
        .address_space:  global
        .offset:         32
        .size:           8
        .value_kind:     global_buffer
      - .offset:         40
        .size:           4
        .value_kind:     hidden_block_count_x
      - .offset:         44
        .size:           4
        .value_kind:     hidden_block_count_y
      - .offset:         48
        .size:           4
        .value_kind:     hidden_block_count_z
      - .offset:         52
        .size:           2
        .value_kind:     hidden_group_size_x
      - .offset:         54
        .size:           2
        .value_kind:     hidden_group_size_y
      - .offset:         56
        .size:           2
        .value_kind:     hidden_group_size_z
      - .offset:         58
        .size:           2
        .value_kind:     hidden_remainder_x
      - .offset:         60
        .size:           2
        .value_kind:     hidden_remainder_y
      - .offset:         62
        .size:           2
        .value_kind:     hidden_remainder_z
      - .offset:         80
        .size:           8
        .value_kind:     hidden_global_offset_x
      - .offset:         88
        .size:           8
        .value_kind:     hidden_global_offset_y
      - .offset:         96
        .size:           8
        .value_kind:     hidden_global_offset_z
      - .offset:         104
        .size:           2
        .value_kind:     hidden_grid_dims
    .group_segment_fixed_size: 32768
    .kernarg_segment_align: 8
    .kernarg_segment_size: 296
    .language:       OpenCL C
    .language_version:
      - 2
      - 0
    .max_flat_workgroup_size: 1024
    .name:           _ZN9rocsparseL14nnz_kernel_rowILi64ELi16ElifEEv16rocsparse_order_T2_S2_PKT3_lPT1_
    .private_segment_fixed_size: 0
    .sgpr_count:     24
    .sgpr_spill_count: 0
    .symbol:         _ZN9rocsparseL14nnz_kernel_rowILi64ELi16ElifEEv16rocsparse_order_T2_S2_PKT3_lPT1_.kd
    .uniform_work_group_size: 1
    .uses_dynamic_stack: false
    .vgpr_count:     41
    .vgpr_spill_count: 0
    .wavefront_size: 32
    .workgroup_processor_mode: 1
  - .args:
      - .offset:         0
        .size:           4
        .value_kind:     by_value
      - .offset:         4
        .size:           4
        .value_kind:     by_value
      - .offset:         8
        .size:           4
        .value_kind:     by_value
      - .actual_access:  read_only
        .address_space:  global
        .offset:         16
        .size:           8
        .value_kind:     global_buffer
      - .offset:         24
        .size:           8
        .value_kind:     by_value
      - .actual_access:  write_only
        .address_space:  global
        .offset:         32
        .size:           8
        .value_kind:     global_buffer
    .group_segment_fixed_size: 2048
    .kernarg_segment_align: 8
    .kernarg_segment_size: 40
    .language:       OpenCL C
    .language_version:
      - 2
      - 0
    .max_flat_workgroup_size: 256
    .name:           _ZN9rocsparseL14nnz_kernel_colILi256ElifEEv16rocsparse_order_T1_S2_PKT2_lPT0_
    .private_segment_fixed_size: 0
    .sgpr_count:     16
    .sgpr_spill_count: 0
    .symbol:         _ZN9rocsparseL14nnz_kernel_colILi256ElifEEv16rocsparse_order_T1_S2_PKT2_lPT0_.kd
    .uniform_work_group_size: 1
    .uses_dynamic_stack: false
    .vgpr_count:     17
    .vgpr_spill_count: 0
    .wavefront_size: 32
    .workgroup_processor_mode: 1
  - .args:
      - .offset:         0
        .size:           4
        .value_kind:     by_value
      - .offset:         4
        .size:           4
        .value_kind:     by_value
      - .offset:         8
        .size:           4
        .value_kind:     by_value
      - .actual_access:  read_only
        .address_space:  global
        .offset:         16
        .size:           8
        .value_kind:     global_buffer
      - .offset:         24
        .size:           8
        .value_kind:     by_value
      - .actual_access:  write_only
        .address_space:  global
        .offset:         32
        .size:           8
        .value_kind:     global_buffer
      - .offset:         40
        .size:           4
        .value_kind:     hidden_block_count_x
      - .offset:         44
        .size:           4
        .value_kind:     hidden_block_count_y
      - .offset:         48
        .size:           4
        .value_kind:     hidden_block_count_z
      - .offset:         52
        .size:           2
        .value_kind:     hidden_group_size_x
      - .offset:         54
        .size:           2
        .value_kind:     hidden_group_size_y
      - .offset:         56
        .size:           2
        .value_kind:     hidden_group_size_z
      - .offset:         58
        .size:           2
        .value_kind:     hidden_remainder_x
      - .offset:         60
        .size:           2
        .value_kind:     hidden_remainder_y
      - .offset:         62
        .size:           2
        .value_kind:     hidden_remainder_z
      - .offset:         80
        .size:           8
        .value_kind:     hidden_global_offset_x
      - .offset:         88
        .size:           8
        .value_kind:     hidden_global_offset_y
      - .offset:         96
        .size:           8
        .value_kind:     hidden_global_offset_z
      - .offset:         104
        .size:           2
        .value_kind:     hidden_grid_dims
    .group_segment_fixed_size: 32768
    .kernarg_segment_align: 8
    .kernarg_segment_size: 296
    .language:       OpenCL C
    .language_version:
      - 2
      - 0
    .max_flat_workgroup_size: 1024
    .name:           _ZN9rocsparseL14nnz_kernel_rowILi64ELi16ElidEEv16rocsparse_order_T2_S2_PKT3_lPT1_
    .private_segment_fixed_size: 0
    .sgpr_count:     24
    .sgpr_spill_count: 0
    .symbol:         _ZN9rocsparseL14nnz_kernel_rowILi64ELi16ElidEEv16rocsparse_order_T2_S2_PKT3_lPT1_.kd
    .uniform_work_group_size: 1
    .uses_dynamic_stack: false
    .vgpr_count:     42
    .vgpr_spill_count: 0
    .wavefront_size: 32
    .workgroup_processor_mode: 1
  - .args:
      - .offset:         0
        .size:           4
        .value_kind:     by_value
      - .offset:         4
        .size:           4
        .value_kind:     by_value
      - .offset:         8
        .size:           4
        .value_kind:     by_value
      - .actual_access:  read_only
        .address_space:  global
        .offset:         16
        .size:           8
        .value_kind:     global_buffer
      - .offset:         24
        .size:           8
        .value_kind:     by_value
      - .actual_access:  write_only
        .address_space:  global
        .offset:         32
        .size:           8
        .value_kind:     global_buffer
    .group_segment_fixed_size: 2048
    .kernarg_segment_align: 8
    .kernarg_segment_size: 40
    .language:       OpenCL C
    .language_version:
      - 2
      - 0
    .max_flat_workgroup_size: 256
    .name:           _ZN9rocsparseL14nnz_kernel_colILi256ElidEEv16rocsparse_order_T1_S2_PKT2_lPT0_
    .private_segment_fixed_size: 0
    .sgpr_count:     16
    .sgpr_spill_count: 0
    .symbol:         _ZN9rocsparseL14nnz_kernel_colILi256ElidEEv16rocsparse_order_T1_S2_PKT2_lPT0_.kd
    .uniform_work_group_size: 1
    .uses_dynamic_stack: false
    .vgpr_count:     17
    .vgpr_spill_count: 0
    .wavefront_size: 32
    .workgroup_processor_mode: 1
  - .args:
      - .offset:         0
        .size:           4
        .value_kind:     by_value
      - .offset:         4
        .size:           4
        .value_kind:     by_value
      - .offset:         8
        .size:           4
        .value_kind:     by_value
      - .actual_access:  read_only
        .address_space:  global
        .offset:         16
        .size:           8
        .value_kind:     global_buffer
      - .offset:         24
        .size:           8
        .value_kind:     by_value
      - .actual_access:  write_only
        .address_space:  global
        .offset:         32
        .size:           8
        .value_kind:     global_buffer
      - .offset:         40
        .size:           4
        .value_kind:     hidden_block_count_x
      - .offset:         44
        .size:           4
        .value_kind:     hidden_block_count_y
      - .offset:         48
        .size:           4
        .value_kind:     hidden_block_count_z
      - .offset:         52
        .size:           2
        .value_kind:     hidden_group_size_x
      - .offset:         54
        .size:           2
        .value_kind:     hidden_group_size_y
      - .offset:         56
        .size:           2
        .value_kind:     hidden_group_size_z
      - .offset:         58
        .size:           2
        .value_kind:     hidden_remainder_x
      - .offset:         60
        .size:           2
        .value_kind:     hidden_remainder_y
      - .offset:         62
        .size:           2
        .value_kind:     hidden_remainder_z
      - .offset:         80
        .size:           8
        .value_kind:     hidden_global_offset_x
      - .offset:         88
        .size:           8
        .value_kind:     hidden_global_offset_y
      - .offset:         96
        .size:           8
        .value_kind:     hidden_global_offset_z
      - .offset:         104
        .size:           2
        .value_kind:     hidden_grid_dims
    .group_segment_fixed_size: 32768
    .kernarg_segment_align: 8
    .kernarg_segment_size: 296
    .language:       OpenCL C
    .language_version:
      - 2
      - 0
    .max_flat_workgroup_size: 1024
    .name:           _ZN9rocsparseL14nnz_kernel_rowILi64ELi16Eli21rocsparse_complex_numIfEEEv16rocsparse_order_T2_S4_PKT3_lPT1_
    .private_segment_fixed_size: 0
    .sgpr_count:     25
    .sgpr_spill_count: 0
    .symbol:         _ZN9rocsparseL14nnz_kernel_rowILi64ELi16Eli21rocsparse_complex_numIfEEEv16rocsparse_order_T2_S4_PKT3_lPT1_.kd
    .uniform_work_group_size: 1
    .uses_dynamic_stack: false
    .vgpr_count:     40
    .vgpr_spill_count: 0
    .wavefront_size: 32
    .workgroup_processor_mode: 1
  - .args:
      - .offset:         0
        .size:           4
        .value_kind:     by_value
      - .offset:         4
        .size:           4
        .value_kind:     by_value
      - .offset:         8
        .size:           4
        .value_kind:     by_value
      - .actual_access:  read_only
        .address_space:  global
        .offset:         16
        .size:           8
        .value_kind:     global_buffer
      - .offset:         24
        .size:           8
        .value_kind:     by_value
      - .actual_access:  write_only
        .address_space:  global
        .offset:         32
        .size:           8
        .value_kind:     global_buffer
    .group_segment_fixed_size: 2048
    .kernarg_segment_align: 8
    .kernarg_segment_size: 40
    .language:       OpenCL C
    .language_version:
      - 2
      - 0
    .max_flat_workgroup_size: 256
    .name:           _ZN9rocsparseL14nnz_kernel_colILi256Eli21rocsparse_complex_numIfEEEv16rocsparse_order_T1_S4_PKT2_lPT0_
    .private_segment_fixed_size: 0
    .sgpr_count:     18
    .sgpr_spill_count: 0
    .symbol:         _ZN9rocsparseL14nnz_kernel_colILi256Eli21rocsparse_complex_numIfEEEv16rocsparse_order_T1_S4_PKT2_lPT0_.kd
    .uniform_work_group_size: 1
    .uses_dynamic_stack: false
    .vgpr_count:     17
    .vgpr_spill_count: 0
    .wavefront_size: 32
    .workgroup_processor_mode: 1
  - .args:
      - .offset:         0
        .size:           4
        .value_kind:     by_value
      - .offset:         4
        .size:           4
        .value_kind:     by_value
      - .offset:         8
        .size:           4
        .value_kind:     by_value
      - .actual_access:  read_only
        .address_space:  global
        .offset:         16
        .size:           8
        .value_kind:     global_buffer
      - .offset:         24
        .size:           8
        .value_kind:     by_value
      - .actual_access:  write_only
        .address_space:  global
        .offset:         32
        .size:           8
        .value_kind:     global_buffer
      - .offset:         40
        .size:           4
        .value_kind:     hidden_block_count_x
      - .offset:         44
        .size:           4
        .value_kind:     hidden_block_count_y
      - .offset:         48
        .size:           4
        .value_kind:     hidden_block_count_z
      - .offset:         52
        .size:           2
        .value_kind:     hidden_group_size_x
      - .offset:         54
        .size:           2
        .value_kind:     hidden_group_size_y
      - .offset:         56
        .size:           2
        .value_kind:     hidden_group_size_z
      - .offset:         58
        .size:           2
        .value_kind:     hidden_remainder_x
      - .offset:         60
        .size:           2
        .value_kind:     hidden_remainder_y
      - .offset:         62
        .size:           2
        .value_kind:     hidden_remainder_z
      - .offset:         80
        .size:           8
        .value_kind:     hidden_global_offset_x
      - .offset:         88
        .size:           8
        .value_kind:     hidden_global_offset_y
      - .offset:         96
        .size:           8
        .value_kind:     hidden_global_offset_z
      - .offset:         104
        .size:           2
        .value_kind:     hidden_grid_dims
    .group_segment_fixed_size: 32768
    .kernarg_segment_align: 8
    .kernarg_segment_size: 296
    .language:       OpenCL C
    .language_version:
      - 2
      - 0
    .max_flat_workgroup_size: 1024
    .name:           _ZN9rocsparseL14nnz_kernel_rowILi64ELi16Eli21rocsparse_complex_numIdEEEv16rocsparse_order_T2_S4_PKT3_lPT1_
    .private_segment_fixed_size: 0
    .sgpr_count:     27
    .sgpr_spill_count: 0
    .symbol:         _ZN9rocsparseL14nnz_kernel_rowILi64ELi16Eli21rocsparse_complex_numIdEEEv16rocsparse_order_T2_S4_PKT3_lPT1_.kd
    .uniform_work_group_size: 1
    .uses_dynamic_stack: false
    .vgpr_count:     63
    .vgpr_spill_count: 0
    .wavefront_size: 32
    .workgroup_processor_mode: 1
  - .args:
      - .offset:         0
        .size:           4
        .value_kind:     by_value
      - .offset:         4
        .size:           4
        .value_kind:     by_value
      - .offset:         8
        .size:           4
        .value_kind:     by_value
      - .actual_access:  read_only
        .address_space:  global
        .offset:         16
        .size:           8
        .value_kind:     global_buffer
      - .offset:         24
        .size:           8
        .value_kind:     by_value
      - .actual_access:  write_only
        .address_space:  global
        .offset:         32
        .size:           8
        .value_kind:     global_buffer
    .group_segment_fixed_size: 2048
    .kernarg_segment_align: 8
    .kernarg_segment_size: 40
    .language:       OpenCL C
    .language_version:
      - 2
      - 0
    .max_flat_workgroup_size: 256
    .name:           _ZN9rocsparseL14nnz_kernel_colILi256Eli21rocsparse_complex_numIdEEEv16rocsparse_order_T1_S4_PKT2_lPT0_
    .private_segment_fixed_size: 0
    .sgpr_count:     18
    .sgpr_spill_count: 0
    .symbol:         _ZN9rocsparseL14nnz_kernel_colILi256Eli21rocsparse_complex_numIdEEEv16rocsparse_order_T1_S4_PKT2_lPT0_.kd
    .uniform_work_group_size: 1
    .uses_dynamic_stack: false
    .vgpr_count:     17
    .vgpr_spill_count: 0
    .wavefront_size: 32
    .workgroup_processor_mode: 1
  - .args:
      - .offset:         0
        .size:           4
        .value_kind:     by_value
      - .offset:         8
        .size:           8
        .value_kind:     by_value
      - .offset:         16
        .size:           8
        .value_kind:     by_value
      - .actual_access:  read_only
        .address_space:  global
        .offset:         24
        .size:           8
        .value_kind:     global_buffer
      - .offset:         32
        .size:           8
        .value_kind:     by_value
      - .actual_access:  write_only
        .address_space:  global
        .offset:         40
        .size:           8
        .value_kind:     global_buffer
      - .offset:         48
        .size:           4
        .value_kind:     hidden_block_count_x
      - .offset:         52
        .size:           4
        .value_kind:     hidden_block_count_y
      - .offset:         56
        .size:           4
        .value_kind:     hidden_block_count_z
      - .offset:         60
        .size:           2
        .value_kind:     hidden_group_size_x
      - .offset:         62
        .size:           2
        .value_kind:     hidden_group_size_y
      - .offset:         64
        .size:           2
        .value_kind:     hidden_group_size_z
      - .offset:         66
        .size:           2
        .value_kind:     hidden_remainder_x
      - .offset:         68
        .size:           2
        .value_kind:     hidden_remainder_y
      - .offset:         70
        .size:           2
        .value_kind:     hidden_remainder_z
      - .offset:         88
        .size:           8
        .value_kind:     hidden_global_offset_x
      - .offset:         96
        .size:           8
        .value_kind:     hidden_global_offset_y
      - .offset:         104
        .size:           8
        .value_kind:     hidden_global_offset_z
      - .offset:         112
        .size:           2
        .value_kind:     hidden_grid_dims
    .group_segment_fixed_size: 32768
    .kernarg_segment_align: 8
    .kernarg_segment_size: 304
    .language:       OpenCL C
    .language_version:
      - 2
      - 0
    .max_flat_workgroup_size: 1024
    .name:           _ZN9rocsparseL14nnz_kernel_rowILi64ELi16Ell18rocsparse_bfloat16EEv16rocsparse_order_T2_S3_PKT3_lPT1_
    .private_segment_fixed_size: 0
    .sgpr_count:     29
    .sgpr_spill_count: 0
    .symbol:         _ZN9rocsparseL14nnz_kernel_rowILi64ELi16Ell18rocsparse_bfloat16EEv16rocsparse_order_T2_S3_PKT3_lPT1_.kd
    .uniform_work_group_size: 1
    .uses_dynamic_stack: false
    .vgpr_count:     44
    .vgpr_spill_count: 0
    .wavefront_size: 32
    .workgroup_processor_mode: 1
  - .args:
      - .offset:         0
        .size:           4
        .value_kind:     by_value
      - .offset:         8
        .size:           8
        .value_kind:     by_value
      - .offset:         16
        .size:           8
        .value_kind:     by_value
      - .actual_access:  read_only
        .address_space:  global
        .offset:         24
        .size:           8
        .value_kind:     global_buffer
      - .offset:         32
        .size:           8
        .value_kind:     by_value
      - .actual_access:  write_only
        .address_space:  global
        .offset:         40
        .size:           8
        .value_kind:     global_buffer
    .group_segment_fixed_size: 2048
    .kernarg_segment_align: 8
    .kernarg_segment_size: 48
    .language:       OpenCL C
    .language_version:
      - 2
      - 0
    .max_flat_workgroup_size: 256
    .name:           _ZN9rocsparseL14nnz_kernel_colILi256Ell18rocsparse_bfloat16EEv16rocsparse_order_T1_S3_PKT2_lPT0_
    .private_segment_fixed_size: 0
    .sgpr_count:     19
    .sgpr_spill_count: 0
    .symbol:         _ZN9rocsparseL14nnz_kernel_colILi256Ell18rocsparse_bfloat16EEv16rocsparse_order_T1_S3_PKT2_lPT0_.kd
    .uniform_work_group_size: 1
    .uses_dynamic_stack: false
    .vgpr_count:     17
    .vgpr_spill_count: 0
    .wavefront_size: 32
    .workgroup_processor_mode: 1
  - .args:
      - .offset:         0
        .size:           4
        .value_kind:     by_value
      - .offset:         8
        .size:           8
        .value_kind:     by_value
      - .offset:         16
        .size:           8
        .value_kind:     by_value
      - .actual_access:  read_only
        .address_space:  global
        .offset:         24
        .size:           8
        .value_kind:     global_buffer
      - .offset:         32
        .size:           8
        .value_kind:     by_value
      - .actual_access:  write_only
        .address_space:  global
        .offset:         40
        .size:           8
        .value_kind:     global_buffer
      - .offset:         48
        .size:           4
        .value_kind:     hidden_block_count_x
      - .offset:         52
        .size:           4
        .value_kind:     hidden_block_count_y
      - .offset:         56
        .size:           4
        .value_kind:     hidden_block_count_z
      - .offset:         60
        .size:           2
        .value_kind:     hidden_group_size_x
      - .offset:         62
        .size:           2
        .value_kind:     hidden_group_size_y
      - .offset:         64
        .size:           2
        .value_kind:     hidden_group_size_z
      - .offset:         66
        .size:           2
        .value_kind:     hidden_remainder_x
      - .offset:         68
        .size:           2
        .value_kind:     hidden_remainder_y
      - .offset:         70
        .size:           2
        .value_kind:     hidden_remainder_z
      - .offset:         88
        .size:           8
        .value_kind:     hidden_global_offset_x
      - .offset:         96
        .size:           8
        .value_kind:     hidden_global_offset_y
      - .offset:         104
        .size:           8
        .value_kind:     hidden_global_offset_z
      - .offset:         112
        .size:           2
        .value_kind:     hidden_grid_dims
    .group_segment_fixed_size: 32768
    .kernarg_segment_align: 8
    .kernarg_segment_size: 304
    .language:       OpenCL C
    .language_version:
      - 2
      - 0
    .max_flat_workgroup_size: 1024
    .name:           _ZN9rocsparseL14nnz_kernel_rowILi64ELi16EllDF16_EEv16rocsparse_order_T2_S2_PKT3_lPT1_
    .private_segment_fixed_size: 0
    .sgpr_count:     29
    .sgpr_spill_count: 0
    .symbol:         _ZN9rocsparseL14nnz_kernel_rowILi64ELi16EllDF16_EEv16rocsparse_order_T2_S2_PKT3_lPT1_.kd
    .uniform_work_group_size: 1
    .uses_dynamic_stack: false
    .vgpr_count:     43
    .vgpr_spill_count: 0
    .wavefront_size: 32
    .workgroup_processor_mode: 1
  - .args:
      - .offset:         0
        .size:           4
        .value_kind:     by_value
      - .offset:         8
        .size:           8
        .value_kind:     by_value
      - .offset:         16
        .size:           8
        .value_kind:     by_value
      - .actual_access:  read_only
        .address_space:  global
        .offset:         24
        .size:           8
        .value_kind:     global_buffer
      - .offset:         32
        .size:           8
        .value_kind:     by_value
      - .actual_access:  write_only
        .address_space:  global
        .offset:         40
        .size:           8
        .value_kind:     global_buffer
    .group_segment_fixed_size: 2048
    .kernarg_segment_align: 8
    .kernarg_segment_size: 48
    .language:       OpenCL C
    .language_version:
      - 2
      - 0
    .max_flat_workgroup_size: 256
    .name:           _ZN9rocsparseL14nnz_kernel_colILi256EllDF16_EEv16rocsparse_order_T1_S2_PKT2_lPT0_
    .private_segment_fixed_size: 0
    .sgpr_count:     19
    .sgpr_spill_count: 0
    .symbol:         _ZN9rocsparseL14nnz_kernel_colILi256EllDF16_EEv16rocsparse_order_T1_S2_PKT2_lPT0_.kd
    .uniform_work_group_size: 1
    .uses_dynamic_stack: false
    .vgpr_count:     17
    .vgpr_spill_count: 0
    .wavefront_size: 32
    .workgroup_processor_mode: 1
  - .args:
      - .offset:         0
        .size:           4
        .value_kind:     by_value
      - .offset:         8
        .size:           8
        .value_kind:     by_value
      - .offset:         16
        .size:           8
        .value_kind:     by_value
      - .actual_access:  read_only
        .address_space:  global
        .offset:         24
        .size:           8
        .value_kind:     global_buffer
      - .offset:         32
        .size:           8
        .value_kind:     by_value
      - .actual_access:  write_only
        .address_space:  global
        .offset:         40
        .size:           8
        .value_kind:     global_buffer
      - .offset:         48
        .size:           4
        .value_kind:     hidden_block_count_x
      - .offset:         52
        .size:           4
        .value_kind:     hidden_block_count_y
      - .offset:         56
        .size:           4
        .value_kind:     hidden_block_count_z
      - .offset:         60
        .size:           2
        .value_kind:     hidden_group_size_x
      - .offset:         62
        .size:           2
        .value_kind:     hidden_group_size_y
      - .offset:         64
        .size:           2
        .value_kind:     hidden_group_size_z
      - .offset:         66
        .size:           2
        .value_kind:     hidden_remainder_x
      - .offset:         68
        .size:           2
        .value_kind:     hidden_remainder_y
      - .offset:         70
        .size:           2
        .value_kind:     hidden_remainder_z
      - .offset:         88
        .size:           8
        .value_kind:     hidden_global_offset_x
      - .offset:         96
        .size:           8
        .value_kind:     hidden_global_offset_y
      - .offset:         104
        .size:           8
        .value_kind:     hidden_global_offset_z
      - .offset:         112
        .size:           2
        .value_kind:     hidden_grid_dims
    .group_segment_fixed_size: 32768
    .kernarg_segment_align: 8
    .kernarg_segment_size: 304
    .language:       OpenCL C
    .language_version:
      - 2
      - 0
    .max_flat_workgroup_size: 1024
    .name:           _ZN9rocsparseL14nnz_kernel_rowILi64ELi16EllfEEv16rocsparse_order_T2_S2_PKT3_lPT1_
    .private_segment_fixed_size: 0
    .sgpr_count:     29
    .sgpr_spill_count: 0
    .symbol:         _ZN9rocsparseL14nnz_kernel_rowILi64ELi16EllfEEv16rocsparse_order_T2_S2_PKT3_lPT1_.kd
    .uniform_work_group_size: 1
    .uses_dynamic_stack: false
    .vgpr_count:     43
    .vgpr_spill_count: 0
    .wavefront_size: 32
    .workgroup_processor_mode: 1
  - .args:
      - .offset:         0
        .size:           4
        .value_kind:     by_value
      - .offset:         8
        .size:           8
        .value_kind:     by_value
      - .offset:         16
        .size:           8
        .value_kind:     by_value
      - .actual_access:  read_only
        .address_space:  global
        .offset:         24
        .size:           8
        .value_kind:     global_buffer
      - .offset:         32
        .size:           8
        .value_kind:     by_value
      - .actual_access:  write_only
        .address_space:  global
        .offset:         40
        .size:           8
        .value_kind:     global_buffer
    .group_segment_fixed_size: 2048
    .kernarg_segment_align: 8
    .kernarg_segment_size: 48
    .language:       OpenCL C
    .language_version:
      - 2
      - 0
    .max_flat_workgroup_size: 256
    .name:           _ZN9rocsparseL14nnz_kernel_colILi256EllfEEv16rocsparse_order_T1_S2_PKT2_lPT0_
    .private_segment_fixed_size: 0
    .sgpr_count:     19
    .sgpr_spill_count: 0
    .symbol:         _ZN9rocsparseL14nnz_kernel_colILi256EllfEEv16rocsparse_order_T1_S2_PKT2_lPT0_.kd
    .uniform_work_group_size: 1
    .uses_dynamic_stack: false
    .vgpr_count:     17
    .vgpr_spill_count: 0
    .wavefront_size: 32
    .workgroup_processor_mode: 1
  - .args:
      - .offset:         0
        .size:           4
        .value_kind:     by_value
      - .offset:         8
        .size:           8
        .value_kind:     by_value
      - .offset:         16
        .size:           8
        .value_kind:     by_value
      - .actual_access:  read_only
        .address_space:  global
        .offset:         24
        .size:           8
        .value_kind:     global_buffer
      - .offset:         32
        .size:           8
        .value_kind:     by_value
      - .actual_access:  write_only
        .address_space:  global
        .offset:         40
        .size:           8
        .value_kind:     global_buffer
      - .offset:         48
        .size:           4
        .value_kind:     hidden_block_count_x
      - .offset:         52
        .size:           4
        .value_kind:     hidden_block_count_y
      - .offset:         56
        .size:           4
        .value_kind:     hidden_block_count_z
      - .offset:         60
        .size:           2
        .value_kind:     hidden_group_size_x
      - .offset:         62
        .size:           2
        .value_kind:     hidden_group_size_y
      - .offset:         64
        .size:           2
        .value_kind:     hidden_group_size_z
      - .offset:         66
        .size:           2
        .value_kind:     hidden_remainder_x
      - .offset:         68
        .size:           2
        .value_kind:     hidden_remainder_y
      - .offset:         70
        .size:           2
        .value_kind:     hidden_remainder_z
      - .offset:         88
        .size:           8
        .value_kind:     hidden_global_offset_x
      - .offset:         96
        .size:           8
        .value_kind:     hidden_global_offset_y
      - .offset:         104
        .size:           8
        .value_kind:     hidden_global_offset_z
      - .offset:         112
        .size:           2
        .value_kind:     hidden_grid_dims
    .group_segment_fixed_size: 32768
    .kernarg_segment_align: 8
    .kernarg_segment_size: 304
    .language:       OpenCL C
    .language_version:
      - 2
      - 0
    .max_flat_workgroup_size: 1024
    .name:           _ZN9rocsparseL14nnz_kernel_rowILi64ELi16ElldEEv16rocsparse_order_T2_S2_PKT3_lPT1_
    .private_segment_fixed_size: 0
    .sgpr_count:     29
    .sgpr_spill_count: 0
    .symbol:         _ZN9rocsparseL14nnz_kernel_rowILi64ELi16ElldEEv16rocsparse_order_T2_S2_PKT3_lPT1_.kd
    .uniform_work_group_size: 1
    .uses_dynamic_stack: false
    .vgpr_count:     44
    .vgpr_spill_count: 0
    .wavefront_size: 32
    .workgroup_processor_mode: 1
  - .args:
      - .offset:         0
        .size:           4
        .value_kind:     by_value
      - .offset:         8
        .size:           8
        .value_kind:     by_value
      - .offset:         16
        .size:           8
        .value_kind:     by_value
      - .actual_access:  read_only
        .address_space:  global
        .offset:         24
        .size:           8
        .value_kind:     global_buffer
      - .offset:         32
        .size:           8
        .value_kind:     by_value
      - .actual_access:  write_only
        .address_space:  global
        .offset:         40
        .size:           8
        .value_kind:     global_buffer
    .group_segment_fixed_size: 2048
    .kernarg_segment_align: 8
    .kernarg_segment_size: 48
    .language:       OpenCL C
    .language_version:
      - 2
      - 0
    .max_flat_workgroup_size: 256
    .name:           _ZN9rocsparseL14nnz_kernel_colILi256ElldEEv16rocsparse_order_T1_S2_PKT2_lPT0_
    .private_segment_fixed_size: 0
    .sgpr_count:     19
    .sgpr_spill_count: 0
    .symbol:         _ZN9rocsparseL14nnz_kernel_colILi256ElldEEv16rocsparse_order_T1_S2_PKT2_lPT0_.kd
    .uniform_work_group_size: 1
    .uses_dynamic_stack: false
    .vgpr_count:     17
    .vgpr_spill_count: 0
    .wavefront_size: 32
    .workgroup_processor_mode: 1
  - .args:
      - .offset:         0
        .size:           4
        .value_kind:     by_value
      - .offset:         8
        .size:           8
        .value_kind:     by_value
      - .offset:         16
        .size:           8
        .value_kind:     by_value
      - .actual_access:  read_only
        .address_space:  global
        .offset:         24
        .size:           8
        .value_kind:     global_buffer
      - .offset:         32
        .size:           8
        .value_kind:     by_value
      - .actual_access:  write_only
        .address_space:  global
        .offset:         40
        .size:           8
        .value_kind:     global_buffer
      - .offset:         48
        .size:           4
        .value_kind:     hidden_block_count_x
      - .offset:         52
        .size:           4
        .value_kind:     hidden_block_count_y
      - .offset:         56
        .size:           4
        .value_kind:     hidden_block_count_z
      - .offset:         60
        .size:           2
        .value_kind:     hidden_group_size_x
      - .offset:         62
        .size:           2
        .value_kind:     hidden_group_size_y
      - .offset:         64
        .size:           2
        .value_kind:     hidden_group_size_z
      - .offset:         66
        .size:           2
        .value_kind:     hidden_remainder_x
      - .offset:         68
        .size:           2
        .value_kind:     hidden_remainder_y
      - .offset:         70
        .size:           2
        .value_kind:     hidden_remainder_z
      - .offset:         88
        .size:           8
        .value_kind:     hidden_global_offset_x
      - .offset:         96
        .size:           8
        .value_kind:     hidden_global_offset_y
      - .offset:         104
        .size:           8
        .value_kind:     hidden_global_offset_z
      - .offset:         112
        .size:           2
        .value_kind:     hidden_grid_dims
    .group_segment_fixed_size: 32768
    .kernarg_segment_align: 8
    .kernarg_segment_size: 304
    .language:       OpenCL C
    .language_version:
      - 2
      - 0
    .max_flat_workgroup_size: 1024
    .name:           _ZN9rocsparseL14nnz_kernel_rowILi64ELi16Ell21rocsparse_complex_numIfEEEv16rocsparse_order_T2_S4_PKT3_lPT1_
    .private_segment_fixed_size: 0
    .sgpr_count:     30
    .sgpr_spill_count: 0
    .symbol:         _ZN9rocsparseL14nnz_kernel_rowILi64ELi16Ell21rocsparse_complex_numIfEEEv16rocsparse_order_T2_S4_PKT3_lPT1_.kd
    .uniform_work_group_size: 1
    .uses_dynamic_stack: false
    .vgpr_count:     42
    .vgpr_spill_count: 0
    .wavefront_size: 32
    .workgroup_processor_mode: 1
  - .args:
      - .offset:         0
        .size:           4
        .value_kind:     by_value
      - .offset:         8
        .size:           8
        .value_kind:     by_value
      - .offset:         16
        .size:           8
        .value_kind:     by_value
      - .actual_access:  read_only
        .address_space:  global
        .offset:         24
        .size:           8
        .value_kind:     global_buffer
      - .offset:         32
        .size:           8
        .value_kind:     by_value
      - .actual_access:  write_only
        .address_space:  global
        .offset:         40
        .size:           8
        .value_kind:     global_buffer
    .group_segment_fixed_size: 2048
    .kernarg_segment_align: 8
    .kernarg_segment_size: 48
    .language:       OpenCL C
    .language_version:
      - 2
      - 0
    .max_flat_workgroup_size: 256
    .name:           _ZN9rocsparseL14nnz_kernel_colILi256Ell21rocsparse_complex_numIfEEEv16rocsparse_order_T1_S4_PKT2_lPT0_
    .private_segment_fixed_size: 0
    .sgpr_count:     20
    .sgpr_spill_count: 0
    .symbol:         _ZN9rocsparseL14nnz_kernel_colILi256Ell21rocsparse_complex_numIfEEEv16rocsparse_order_T1_S4_PKT2_lPT0_.kd
    .uniform_work_group_size: 1
    .uses_dynamic_stack: false
    .vgpr_count:     17
    .vgpr_spill_count: 0
    .wavefront_size: 32
    .workgroup_processor_mode: 1
  - .args:
      - .offset:         0
        .size:           4
        .value_kind:     by_value
      - .offset:         8
        .size:           8
        .value_kind:     by_value
      - .offset:         16
        .size:           8
        .value_kind:     by_value
      - .actual_access:  read_only
        .address_space:  global
        .offset:         24
        .size:           8
        .value_kind:     global_buffer
      - .offset:         32
        .size:           8
        .value_kind:     by_value
      - .actual_access:  write_only
        .address_space:  global
        .offset:         40
        .size:           8
        .value_kind:     global_buffer
      - .offset:         48
        .size:           4
        .value_kind:     hidden_block_count_x
      - .offset:         52
        .size:           4
        .value_kind:     hidden_block_count_y
      - .offset:         56
        .size:           4
        .value_kind:     hidden_block_count_z
      - .offset:         60
        .size:           2
        .value_kind:     hidden_group_size_x
      - .offset:         62
        .size:           2
        .value_kind:     hidden_group_size_y
      - .offset:         64
        .size:           2
        .value_kind:     hidden_group_size_z
      - .offset:         66
        .size:           2
        .value_kind:     hidden_remainder_x
      - .offset:         68
        .size:           2
        .value_kind:     hidden_remainder_y
      - .offset:         70
        .size:           2
        .value_kind:     hidden_remainder_z
      - .offset:         88
        .size:           8
        .value_kind:     hidden_global_offset_x
      - .offset:         96
        .size:           8
        .value_kind:     hidden_global_offset_y
      - .offset:         104
        .size:           8
        .value_kind:     hidden_global_offset_z
      - .offset:         112
        .size:           2
        .value_kind:     hidden_grid_dims
    .group_segment_fixed_size: 32768
    .kernarg_segment_align: 8
    .kernarg_segment_size: 304
    .language:       OpenCL C
    .language_version:
      - 2
      - 0
    .max_flat_workgroup_size: 1024
    .name:           _ZN9rocsparseL14nnz_kernel_rowILi64ELi16Ell21rocsparse_complex_numIdEEEv16rocsparse_order_T2_S4_PKT3_lPT1_
    .private_segment_fixed_size: 0
    .sgpr_count:     32
    .sgpr_spill_count: 0
    .symbol:         _ZN9rocsparseL14nnz_kernel_rowILi64ELi16Ell21rocsparse_complex_numIdEEEv16rocsparse_order_T2_S4_PKT3_lPT1_.kd
    .uniform_work_group_size: 1
    .uses_dynamic_stack: false
    .vgpr_count:     49
    .vgpr_spill_count: 0
    .wavefront_size: 32
    .workgroup_processor_mode: 1
  - .args:
      - .offset:         0
        .size:           4
        .value_kind:     by_value
      - .offset:         8
        .size:           8
        .value_kind:     by_value
      - .offset:         16
        .size:           8
        .value_kind:     by_value
      - .actual_access:  read_only
        .address_space:  global
        .offset:         24
        .size:           8
        .value_kind:     global_buffer
      - .offset:         32
        .size:           8
        .value_kind:     by_value
      - .actual_access:  write_only
        .address_space:  global
        .offset:         40
        .size:           8
        .value_kind:     global_buffer
    .group_segment_fixed_size: 2048
    .kernarg_segment_align: 8
    .kernarg_segment_size: 48
    .language:       OpenCL C
    .language_version:
      - 2
      - 0
    .max_flat_workgroup_size: 256
    .name:           _ZN9rocsparseL14nnz_kernel_colILi256Ell21rocsparse_complex_numIdEEEv16rocsparse_order_T1_S4_PKT2_lPT0_
    .private_segment_fixed_size: 0
    .sgpr_count:     20
    .sgpr_spill_count: 0
    .symbol:         _ZN9rocsparseL14nnz_kernel_colILi256Ell21rocsparse_complex_numIdEEEv16rocsparse_order_T1_S4_PKT2_lPT0_.kd
    .uniform_work_group_size: 1
    .uses_dynamic_stack: false
    .vgpr_count:     17
    .vgpr_spill_count: 0
    .wavefront_size: 32
    .workgroup_processor_mode: 1
amdhsa.target:   amdgcn-amd-amdhsa--gfx1030
amdhsa.version:
  - 1
  - 2
...

	.end_amdgpu_metadata
